;; amdgpu-corpus repo=ROCm/rocFFT kind=compiled arch=gfx1030 opt=O3
	.text
	.amdgcn_target "amdgcn-amd-amdhsa--gfx1030"
	.amdhsa_code_object_version 6
	.protected	fft_rtc_back_len1734_factors_17_17_6_wgs_102_tpt_102_halfLds_dp_op_CI_CI_unitstride_sbrr_dirReg ; -- Begin function fft_rtc_back_len1734_factors_17_17_6_wgs_102_tpt_102_halfLds_dp_op_CI_CI_unitstride_sbrr_dirReg
	.globl	fft_rtc_back_len1734_factors_17_17_6_wgs_102_tpt_102_halfLds_dp_op_CI_CI_unitstride_sbrr_dirReg
	.p2align	8
	.type	fft_rtc_back_len1734_factors_17_17_6_wgs_102_tpt_102_halfLds_dp_op_CI_CI_unitstride_sbrr_dirReg,@function
fft_rtc_back_len1734_factors_17_17_6_wgs_102_tpt_102_halfLds_dp_op_CI_CI_unitstride_sbrr_dirReg: ; @fft_rtc_back_len1734_factors_17_17_6_wgs_102_tpt_102_halfLds_dp_op_CI_CI_unitstride_sbrr_dirReg
; %bb.0:
	s_clause 0x2
	s_load_dwordx4 s[8:11], s[4:5], 0x0
	s_load_dwordx4 s[12:15], s[4:5], 0x58
	;; [unrolled: 1-line block ×3, first 2 shown]
	v_mul_u32_u24_e32 v2, 0x283, v0
	v_mov_b32_e32 v1, 0
	v_mov_b32_e32 v4, 0
	;; [unrolled: 1-line block ×3, first 2 shown]
	v_add_nc_u32_sdwa v6, s6, v2 dst_sel:DWORD dst_unused:UNUSED_PAD src0_sel:DWORD src1_sel:WORD_1
	v_mov_b32_e32 v7, v1
	s_waitcnt lgkmcnt(0)
	v_cmp_lt_u64_e64 s0, s[10:11], 2
	s_and_b32 vcc_lo, exec_lo, s0
	s_cbranch_vccnz .LBB0_8
; %bb.1:
	s_load_dwordx2 s[0:1], s[4:5], 0x10
	v_mov_b32_e32 v4, 0
	v_mov_b32_e32 v5, 0
	s_add_u32 s2, s18, 8
	s_addc_u32 s3, s19, 0
	s_add_u32 s6, s16, 8
	s_addc_u32 s7, s17, 0
	v_mov_b32_e32 v69, v5
	v_mov_b32_e32 v68, v4
	s_mov_b64 s[22:23], 1
	s_waitcnt lgkmcnt(0)
	s_add_u32 s20, s0, 8
	s_addc_u32 s21, s1, 0
.LBB0_2:                                ; =>This Inner Loop Header: Depth=1
	s_load_dwordx2 s[24:25], s[20:21], 0x0
                                        ; implicit-def: $vgpr70_vgpr71
	s_mov_b32 s0, exec_lo
	s_waitcnt lgkmcnt(0)
	v_or_b32_e32 v2, s25, v7
	v_cmpx_ne_u64_e32 0, v[1:2]
	s_xor_b32 s1, exec_lo, s0
	s_cbranch_execz .LBB0_4
; %bb.3:                                ;   in Loop: Header=BB0_2 Depth=1
	v_cvt_f32_u32_e32 v2, s24
	v_cvt_f32_u32_e32 v3, s25
	s_sub_u32 s0, 0, s24
	s_subb_u32 s26, 0, s25
	v_fmac_f32_e32 v2, 0x4f800000, v3
	v_rcp_f32_e32 v2, v2
	v_mul_f32_e32 v2, 0x5f7ffffc, v2
	v_mul_f32_e32 v3, 0x2f800000, v2
	v_trunc_f32_e32 v3, v3
	v_fmac_f32_e32 v2, 0xcf800000, v3
	v_cvt_u32_f32_e32 v3, v3
	v_cvt_u32_f32_e32 v2, v2
	v_mul_lo_u32 v8, s0, v3
	v_mul_hi_u32 v9, s0, v2
	v_mul_lo_u32 v10, s26, v2
	v_add_nc_u32_e32 v8, v9, v8
	v_mul_lo_u32 v9, s0, v2
	v_add_nc_u32_e32 v8, v8, v10
	v_mul_hi_u32 v10, v2, v9
	v_mul_lo_u32 v11, v2, v8
	v_mul_hi_u32 v12, v2, v8
	v_mul_hi_u32 v13, v3, v9
	v_mul_lo_u32 v9, v3, v9
	v_mul_hi_u32 v14, v3, v8
	v_mul_lo_u32 v8, v3, v8
	v_add_co_u32 v10, vcc_lo, v10, v11
	v_add_co_ci_u32_e32 v11, vcc_lo, 0, v12, vcc_lo
	v_add_co_u32 v9, vcc_lo, v10, v9
	v_add_co_ci_u32_e32 v9, vcc_lo, v11, v13, vcc_lo
	v_add_co_ci_u32_e32 v10, vcc_lo, 0, v14, vcc_lo
	v_add_co_u32 v8, vcc_lo, v9, v8
	v_add_co_ci_u32_e32 v9, vcc_lo, 0, v10, vcc_lo
	v_add_co_u32 v2, vcc_lo, v2, v8
	v_add_co_ci_u32_e32 v3, vcc_lo, v3, v9, vcc_lo
	v_mul_hi_u32 v8, s0, v2
	v_mul_lo_u32 v10, s26, v2
	v_mul_lo_u32 v9, s0, v3
	v_add_nc_u32_e32 v8, v8, v9
	v_mul_lo_u32 v9, s0, v2
	v_add_nc_u32_e32 v8, v8, v10
	v_mul_hi_u32 v10, v2, v9
	v_mul_lo_u32 v11, v2, v8
	v_mul_hi_u32 v12, v2, v8
	v_mul_hi_u32 v13, v3, v9
	v_mul_lo_u32 v9, v3, v9
	v_mul_hi_u32 v14, v3, v8
	v_mul_lo_u32 v8, v3, v8
	v_add_co_u32 v10, vcc_lo, v10, v11
	v_add_co_ci_u32_e32 v11, vcc_lo, 0, v12, vcc_lo
	v_add_co_u32 v9, vcc_lo, v10, v9
	v_add_co_ci_u32_e32 v9, vcc_lo, v11, v13, vcc_lo
	v_add_co_ci_u32_e32 v10, vcc_lo, 0, v14, vcc_lo
	v_add_co_u32 v8, vcc_lo, v9, v8
	v_add_co_ci_u32_e32 v9, vcc_lo, 0, v10, vcc_lo
	v_add_co_u32 v8, vcc_lo, v2, v8
	v_add_co_ci_u32_e32 v10, vcc_lo, v3, v9, vcc_lo
	v_mul_hi_u32 v12, v6, v8
	v_mad_u64_u32 v[8:9], null, v7, v8, 0
	v_mad_u64_u32 v[2:3], null, v6, v10, 0
	;; [unrolled: 1-line block ×3, first 2 shown]
	v_add_co_u32 v2, vcc_lo, v12, v2
	v_add_co_ci_u32_e32 v3, vcc_lo, 0, v3, vcc_lo
	v_add_co_u32 v2, vcc_lo, v2, v8
	v_add_co_ci_u32_e32 v2, vcc_lo, v3, v9, vcc_lo
	v_add_co_ci_u32_e32 v3, vcc_lo, 0, v11, vcc_lo
	v_add_co_u32 v8, vcc_lo, v2, v10
	v_add_co_ci_u32_e32 v9, vcc_lo, 0, v3, vcc_lo
	v_mul_lo_u32 v10, s25, v8
	v_mad_u64_u32 v[2:3], null, s24, v8, 0
	v_mul_lo_u32 v11, s24, v9
	v_sub_co_u32 v2, vcc_lo, v6, v2
	v_add3_u32 v3, v3, v11, v10
	v_sub_nc_u32_e32 v10, v7, v3
	v_subrev_co_ci_u32_e64 v10, s0, s25, v10, vcc_lo
	v_add_co_u32 v11, s0, v8, 2
	v_add_co_ci_u32_e64 v12, s0, 0, v9, s0
	v_sub_co_u32 v13, s0, v2, s24
	v_sub_co_ci_u32_e32 v3, vcc_lo, v7, v3, vcc_lo
	v_subrev_co_ci_u32_e64 v10, s0, 0, v10, s0
	v_cmp_le_u32_e32 vcc_lo, s24, v13
	v_cmp_eq_u32_e64 s0, s25, v3
	v_cndmask_b32_e64 v13, 0, -1, vcc_lo
	v_cmp_le_u32_e32 vcc_lo, s25, v10
	v_cndmask_b32_e64 v14, 0, -1, vcc_lo
	v_cmp_le_u32_e32 vcc_lo, s24, v2
	;; [unrolled: 2-line block ×3, first 2 shown]
	v_cndmask_b32_e64 v15, 0, -1, vcc_lo
	v_cmp_eq_u32_e32 vcc_lo, s25, v10
	v_cndmask_b32_e64 v2, v15, v2, s0
	v_cndmask_b32_e32 v10, v14, v13, vcc_lo
	v_add_co_u32 v13, vcc_lo, v8, 1
	v_add_co_ci_u32_e32 v14, vcc_lo, 0, v9, vcc_lo
	v_cmp_ne_u32_e32 vcc_lo, 0, v10
	v_cndmask_b32_e32 v3, v14, v12, vcc_lo
	v_cndmask_b32_e32 v10, v13, v11, vcc_lo
	v_cmp_ne_u32_e32 vcc_lo, 0, v2
	v_cndmask_b32_e32 v71, v9, v3, vcc_lo
	v_cndmask_b32_e32 v70, v8, v10, vcc_lo
.LBB0_4:                                ;   in Loop: Header=BB0_2 Depth=1
	s_andn2_saveexec_b32 s0, s1
	s_cbranch_execz .LBB0_6
; %bb.5:                                ;   in Loop: Header=BB0_2 Depth=1
	v_cvt_f32_u32_e32 v2, s24
	s_sub_i32 s1, 0, s24
	v_mov_b32_e32 v71, v1
	v_rcp_iflag_f32_e32 v2, v2
	v_mul_f32_e32 v2, 0x4f7ffffe, v2
	v_cvt_u32_f32_e32 v2, v2
	v_mul_lo_u32 v3, s1, v2
	v_mul_hi_u32 v3, v2, v3
	v_add_nc_u32_e32 v2, v2, v3
	v_mul_hi_u32 v2, v6, v2
	v_mul_lo_u32 v3, v2, s24
	v_add_nc_u32_e32 v8, 1, v2
	v_sub_nc_u32_e32 v3, v6, v3
	v_subrev_nc_u32_e32 v9, s24, v3
	v_cmp_le_u32_e32 vcc_lo, s24, v3
	v_cndmask_b32_e32 v3, v3, v9, vcc_lo
	v_cndmask_b32_e32 v2, v2, v8, vcc_lo
	v_cmp_le_u32_e32 vcc_lo, s24, v3
	v_add_nc_u32_e32 v8, 1, v2
	v_cndmask_b32_e32 v70, v2, v8, vcc_lo
.LBB0_6:                                ;   in Loop: Header=BB0_2 Depth=1
	s_or_b32 exec_lo, exec_lo, s0
	v_mul_lo_u32 v8, v71, s24
	v_mul_lo_u32 v9, v70, s25
	s_load_dwordx2 s[0:1], s[6:7], 0x0
	v_mad_u64_u32 v[2:3], null, v70, s24, 0
	s_load_dwordx2 s[24:25], s[2:3], 0x0
	s_add_u32 s22, s22, 1
	s_addc_u32 s23, s23, 0
	s_add_u32 s2, s2, 8
	s_addc_u32 s3, s3, 0
	s_add_u32 s6, s6, 8
	v_add3_u32 v3, v3, v9, v8
	v_sub_co_u32 v2, vcc_lo, v6, v2
	s_addc_u32 s7, s7, 0
	s_add_u32 s20, s20, 8
	v_sub_co_ci_u32_e32 v3, vcc_lo, v7, v3, vcc_lo
	s_addc_u32 s21, s21, 0
	s_waitcnt lgkmcnt(0)
	v_mul_lo_u32 v6, s0, v3
	v_mul_lo_u32 v7, s1, v2
	v_mad_u64_u32 v[4:5], null, s0, v2, v[4:5]
	v_mul_lo_u32 v3, s24, v3
	v_mul_lo_u32 v8, s25, v2
	v_mad_u64_u32 v[68:69], null, s24, v2, v[68:69]
	v_cmp_ge_u64_e64 s0, s[22:23], s[10:11]
	v_add3_u32 v5, v7, v5, v6
	v_add3_u32 v69, v8, v69, v3
	s_and_b32 vcc_lo, exec_lo, s0
	s_cbranch_vccnz .LBB0_9
; %bb.7:                                ;   in Loop: Header=BB0_2 Depth=1
	v_mov_b32_e32 v6, v70
	v_mov_b32_e32 v7, v71
	s_branch .LBB0_2
.LBB0_8:
	v_mov_b32_e32 v69, v5
	v_mov_b32_e32 v71, v7
	;; [unrolled: 1-line block ×4, first 2 shown]
.LBB0_9:
	s_load_dwordx2 s[0:1], s[4:5], 0x28
	v_mul_hi_u32 v1, 0x2828283, v0
	s_lshl_b64 s[2:3], s[10:11], 3
                                        ; implicit-def: $vgpr192
	s_add_u32 s56, s18, s2
	s_addc_u32 s57, s19, s3
	s_waitcnt lgkmcnt(0)
	v_cmp_gt_u64_e32 vcc_lo, s[0:1], v[70:71]
	v_cmp_le_u64_e64 s0, s[0:1], v[70:71]
	s_and_saveexec_b32 s1, s0
	s_xor_b32 s0, exec_lo, s1
; %bb.10:
	v_mul_u32_u24_e32 v1, 0x66, v1
                                        ; implicit-def: $vgpr4_vgpr5
	v_sub_nc_u32_e32 v192, v0, v1
                                        ; implicit-def: $vgpr1
                                        ; implicit-def: $vgpr0
; %bb.11:
	s_or_saveexec_b32 s1, s0
                                        ; implicit-def: $vgpr6_vgpr7
                                        ; implicit-def: $vgpr10_vgpr11
                                        ; implicit-def: $vgpr18_vgpr19
                                        ; implicit-def: $vgpr22_vgpr23
                                        ; implicit-def: $vgpr26_vgpr27
                                        ; implicit-def: $vgpr34_vgpr35
                                        ; implicit-def: $vgpr38_vgpr39
                                        ; implicit-def: $vgpr50_vgpr51
                                        ; implicit-def: $vgpr54_vgpr55
                                        ; implicit-def: $vgpr62_vgpr63
                                        ; implicit-def: $vgpr66_vgpr67
                                        ; implicit-def: $vgpr58_vgpr59
                                        ; implicit-def: $vgpr46_vgpr47
                                        ; implicit-def: $vgpr30_vgpr31
                                        ; implicit-def: $vgpr14_vgpr15
                                        ; implicit-def: $vgpr42_vgpr43
                                        ; implicit-def: $vgpr2_vgpr3
	s_xor_b32 exec_lo, exec_lo, s1
	s_cbranch_execz .LBB0_13
; %bb.12:
	s_add_u32 s2, s16, s2
	s_addc_u32 s3, s17, s3
	s_load_dwordx2 s[2:3], s[2:3], 0x0
	s_waitcnt lgkmcnt(0)
	v_mul_lo_u32 v6, s3, v70
	v_mul_lo_u32 v7, s2, v71
	v_mad_u64_u32 v[2:3], null, s2, v70, 0
	v_add3_u32 v3, v3, v7, v6
	v_mul_u32_u24_e32 v6, 0x66, v1
	v_lshlrev_b64 v[1:2], 4, v[2:3]
	v_lshlrev_b64 v[3:4], 4, v[4:5]
	v_sub_nc_u32_e32 v192, v0, v6
	v_add_co_u32 v0, s0, s12, v1
	v_add_co_ci_u32_e64 v1, s0, s13, v2, s0
	v_lshlrev_b32_e32 v2, 4, v192
	v_add_co_u32 v0, s0, v0, v3
	v_add_co_ci_u32_e64 v1, s0, v1, v4, s0
	v_add_co_u32 v4, s0, v0, v2
	v_add_co_ci_u32_e64 v5, s0, 0, v1, s0
	s_clause 0x1
	global_load_dwordx4 v[0:3], v[4:5], off
	global_load_dwordx4 v[40:43], v[4:5], off offset:1632
	v_add_co_u32 v6, s0, 0x800, v4
	v_add_co_ci_u32_e64 v7, s0, 0, v5, s0
	v_add_co_u32 v8, s0, 0x1000, v4
	v_add_co_ci_u32_e64 v9, s0, 0, v5, s0
	;; [unrolled: 2-line block ×7, first 2 shown]
	s_clause 0x7
	global_load_dwordx4 v[12:15], v[6:7], off offset:1216
	global_load_dwordx4 v[28:31], v[8:9], off offset:800
	global_load_dwordx4 v[44:47], v[10:11], off offset:384
	global_load_dwordx4 v[56:59], v[10:11], off offset:2016
	global_load_dwordx4 v[64:67], v[16:17], off offset:1600
	global_load_dwordx4 v[60:63], v[18:19], off offset:1184
	global_load_dwordx4 v[52:55], v[20:21], off offset:768
	global_load_dwordx4 v[48:51], v[22:23], off offset:352
	v_add_co_u32 v6, s0, 0x4000, v4
	v_add_co_ci_u32_e64 v7, s0, 0, v5, s0
	v_add_co_u32 v8, s0, 0x4800, v4
	v_add_co_ci_u32_e64 v9, s0, 0, v5, s0
	;; [unrolled: 2-line block ×5, first 2 shown]
	s_clause 0x6
	global_load_dwordx4 v[36:39], v[22:23], off offset:1984
	global_load_dwordx4 v[32:35], v[6:7], off offset:1568
	;; [unrolled: 1-line block ×7, first 2 shown]
.LBB0_13:
	s_or_b32 exec_lo, exec_lo, s1
	s_waitcnt vmcnt(15)
	v_add_f64 v[74:75], v[42:43], v[2:3]
	v_add_f64 v[72:73], v[40:41], v[0:1]
	s_waitcnt vmcnt(0)
	v_add_f64 v[108:109], v[6:7], v[42:43]
	v_add_f64 v[100:101], v[42:43], -v[6:7]
	v_add_f64 v[86:87], v[54:55], -v[50:51]
	v_add_f64 v[96:97], v[4:5], v[40:41]
	v_add_f64 v[98:99], v[40:41], -v[4:5]
	v_add_f64 v[82:83], v[48:49], v[52:53]
	v_add_f64 v[76:77], v[38:39], v[62:63]
	v_add_f64 v[90:91], v[62:63], -v[38:39]
	s_mov_b32 s10, 0x2a9d6da3
	s_mov_b32 s2, 0xeb564b22
	;; [unrolled: 1-line block ×4, first 2 shown]
	v_add_f64 v[84:85], v[36:37], v[60:61]
	v_add_f64 v[78:79], v[60:61], -v[36:37]
	v_add_f64 v[80:81], v[34:35], v[66:67]
	v_add_f64 v[128:129], v[14:15], -v[10:11]
	s_mov_b32 s12, 0x5d8e7cdc
	s_mov_b32 s30, 0x75d4884
	;; [unrolled: 1-line block ×4, first 2 shown]
	v_add_f64 v[74:75], v[14:15], v[74:75]
	v_add_f64 v[72:73], v[12:13], v[72:73]
	s_mov_b32 s16, 0x923c349f
	s_mov_b32 s18, 0x6c9a05f6
	;; [unrolled: 1-line block ×12, first 2 shown]
	v_add_f64 v[88:89], v[32:33], v[64:65]
	v_add_f64 v[112:113], v[46:47], -v[22:23]
	v_add_f64 v[124:125], v[30:31], -v[18:19]
	v_mul_f64 v[104:105], v[100:101], s[18:19]
	v_mul_f64 v[110:111], v[100:101], s[22:23]
	v_mul_f64 v[122:123], v[98:99], s[12:13]
	v_mul_f64 v[156:157], v[98:99], s[6:7]
	v_mul_f64 v[158:159], v[98:99], s[2:3]
	v_add_f64 v[74:75], v[30:31], v[74:75]
	v_add_f64 v[72:73], v[28:29], v[72:73]
	v_mul_f64 v[118:119], v[128:129], s[2:3]
	v_mul_f64 v[140:141], v[128:129], s[4:5]
	s_mov_b32 s48, 0x370991
	s_mov_b32 s24, 0x2b2883cd
	;; [unrolled: 1-line block ×18, first 2 shown]
	v_add_f64 v[74:75], v[46:47], v[74:75]
	v_add_f64 v[72:73], v[44:45], v[72:73]
	v_mul_f64 v[142:143], v[98:99], s[10:11]
	v_mul_f64 v[160:161], v[98:99], s[16:17]
	v_mul_f64 v[162:163], v[98:99], s[18:19]
	v_mul_f64 v[116:117], v[128:129], s[18:19]
	v_mul_f64 v[114:115], v[124:125], s[18:19]
	v_mul_f64 v[136:137], v[128:129], s[40:41]
	v_mul_f64 v[132:133], v[124:125], s[38:39]
	v_mul_f64 v[152:153], v[128:129], s[38:39]
	v_mul_f64 v[150:151], v[128:129], s[44:45]
	v_fma_f64 v[172:173], v[96:97], s[34:35], v[104:105]
	v_fma_f64 v[193:194], v[96:97], s[34:35], -v[104:105]
	v_fma_f64 v[174:175], v[96:97], s[50:51], v[110:111]
	v_fma_f64 v[154:155], v[96:97], s[50:51], -v[110:111]
	v_fma_f64 v[104:105], v[108:109], s[48:49], -v[122:123]
	s_mov_b32 s37, 0x3fc7851a
	s_mov_b32 s43, 0x3fe58eea
	;; [unrolled: 1-line block ×4, first 2 shown]
	v_mul_f64 v[164:165], v[98:99], s[22:23]
	v_mul_f64 v[166:167], v[98:99], s[4:5]
	v_add_f64 v[74:75], v[58:59], v[74:75]
	v_add_f64 v[72:73], v[56:57], v[72:73]
	v_mul_f64 v[98:99], v[124:125], s[36:37]
	v_mul_f64 v[130:131], v[124:125], s[42:43]
	;; [unrolled: 1-line block ×4, first 2 shown]
	s_mov_b32 s47, 0x3fd71e95
	s_mov_b32 s46, s12
	v_add_f64 v[30:31], v[18:19], v[30:31]
	v_mul_f64 v[106:107], v[128:129], s[10:11]
	s_mov_b32 s53, 0x3fe9895b
	v_add_f64 v[172:173], v[0:1], v[172:173]
	s_mov_b32 s52, s18
	v_add_f64 v[174:175], v[0:1], v[174:175]
	v_mul_f64 v[102:103], v[124:125], s[6:7]
	v_mul_f64 v[199:200], v[112:113], s[52:53]
	s_mov_b32 s55, 0x3fefdd0d
	s_mov_b32 s54, s2
	v_mul_f64 v[188:189], v[90:91], s[2:3]
	v_mul_f64 v[219:220], v[90:91], s[12:13]
	;; [unrolled: 1-line block ×4, first 2 shown]
	v_add_f64 v[94:95], v[66:67], v[74:75]
	v_add_f64 v[92:93], v[64:65], v[72:73]
	;; [unrolled: 1-line block ×3, first 2 shown]
	v_add_f64 v[74:75], v[52:53], -v[48:49]
	v_add_f64 v[66:67], v[66:67], -v[34:35]
	;; [unrolled: 1-line block ×3, first 2 shown]
	v_mul_f64 v[128:129], v[128:129], s[46:47]
	v_mul_f64 v[124:125], v[124:125], s[22:23]
	v_add_f64 v[14:15], v[10:11], v[14:15]
	v_add_f64 v[104:105], v[2:3], v[104:105]
	v_cmp_gt_u32_e64 s0, 0x55, v192
	v_add_f64 v[94:95], v[62:63], v[94:95]
	v_add_f64 v[92:93], v[60:61], v[92:93]
	;; [unrolled: 1-line block ×3, first 2 shown]
	v_add_f64 v[58:59], v[58:59], -v[26:27]
	v_add_f64 v[62:63], v[24:25], v[56:57]
	v_add_f64 v[56:57], v[56:57], -v[24:25]
	v_mul_f64 v[190:191], v[66:67], s[22:23]
	v_mul_f64 v[209:210], v[66:67], s[54:55]
	;; [unrolled: 1-line block ×5, first 2 shown]
	v_add_f64 v[42:43], v[54:55], v[94:95]
	v_add_f64 v[40:41], v[52:53], v[92:93]
	v_mul_f64 v[92:93], v[100:101], s[2:3]
	v_mul_f64 v[54:55], v[100:101], s[6:7]
	;; [unrolled: 1-line block ×6, first 2 shown]
	v_add_f64 v[50:51], v[50:51], v[42:43]
	v_add_f64 v[52:53], v[48:49], v[40:41]
	;; [unrolled: 1-line block ×5, first 2 shown]
	v_add_f64 v[42:43], v[44:45], -v[20:21]
	v_add_f64 v[44:45], v[16:17], v[28:29]
	v_fma_f64 v[168:169], v[96:97], s[24:25], v[54:55]
	v_fma_f64 v[126:127], v[96:97], s[24:25], -v[54:55]
	v_fma_f64 v[148:149], v[96:97], s[20:21], -v[92:93]
	v_fma_f64 v[170:171], v[96:97], s[28:29], v[94:95]
	v_fma_f64 v[138:139], v[96:97], s[28:29], -v[94:95]
	v_fma_f64 v[54:55], v[108:109], s[24:25], v[156:157]
	v_fma_f64 v[94:95], v[108:109], s[20:21], -v[158:159]
	v_add_f64 v[28:29], v[28:29], -v[16:17]
	v_add_f64 v[12:13], v[12:13], -v[8:9]
	v_add_f64 v[38:39], v[38:39], v[50:51]
	v_add_f64 v[36:37], v[36:37], v[52:53]
	v_mul_f64 v[52:53], v[100:101], s[10:11]
	v_mul_f64 v[50:51], v[100:101], s[12:13]
	;; [unrolled: 1-line block ×3, first 2 shown]
	v_fma_f64 v[110:111], v[46:47], s[20:21], v[118:119]
	v_fma_f64 v[176:177], v[46:47], s[28:29], v[152:153]
	v_add_f64 v[168:169], v[0:1], v[168:169]
	v_fma_f64 v[178:179], v[46:47], s[24:25], v[150:151]
	v_fma_f64 v[184:185], v[44:45], s[34:35], v[114:115]
	v_add_f64 v[170:171], v[0:1], v[170:171]
	v_fma_f64 v[186:187], v[44:45], s[26:27], v[98:99]
	v_fma_f64 v[180:181], v[46:47], s[30:31], v[106:107]
	v_fma_f64 v[150:151], v[46:47], s[24:25], -v[150:151]
	v_add_f64 v[138:139], v[0:1], v[138:139]
	v_fma_f64 v[118:119], v[46:47], s[20:21], -v[118:119]
	v_add_f64 v[126:127], v[0:1], v[126:127]
	v_fma_f64 v[114:115], v[44:45], s[34:35], -v[114:115]
	v_fma_f64 v[98:99], v[44:45], s[26:27], -v[98:99]
	v_add_f64 v[54:55], v[2:3], v[54:55]
	v_add_f64 v[94:95], v[2:3], v[94:95]
	;; [unrolled: 1-line block ×4, first 2 shown]
	v_fma_f64 v[38:39], v[96:97], s[30:31], v[52:53]
	v_fma_f64 v[36:37], v[96:97], s[48:49], v[50:51]
	v_fma_f64 v[120:121], v[96:97], s[48:49], -v[50:51]
	v_fma_f64 v[134:135], v[96:97], s[30:31], -v[52:53]
	v_fma_f64 v[195:196], v[96:97], s[26:27], v[100:101]
	v_fma_f64 v[197:198], v[96:97], s[26:27], -v[100:101]
	v_fma_f64 v[100:101], v[108:109], s[48:49], v[122:123]
	;; [unrolled: 2-line block ×3, first 2 shown]
	v_fma_f64 v[142:143], v[46:47], s[34:35], v[116:117]
	v_fma_f64 v[116:117], v[46:47], s[34:35], -v[116:117]
	v_add_f64 v[26:27], v[26:27], v[34:35]
	v_fma_f64 v[34:35], v[96:97], s[20:21], v[92:93]
	v_add_f64 v[24:25], v[24:25], v[32:33]
	v_add_f64 v[122:123], v[0:1], v[38:39]
	v_fma_f64 v[96:97], v[108:109], s[24:25], -v[156:157]
	v_fma_f64 v[92:93], v[108:109], s[20:21], v[158:159]
	v_fma_f64 v[156:157], v[46:47], s[26:27], v[140:141]
	v_fma_f64 v[38:39], v[108:109], s[28:29], -v[160:161]
	v_fma_f64 v[32:33], v[108:109], s[28:29], v[160:161]
	v_fma_f64 v[160:161], v[46:47], s[50:51], v[136:137]
	v_add_f64 v[182:183], v[0:1], v[36:37]
	v_add_f64 v[168:169], v[142:143], v[168:169]
	v_mul_f64 v[142:143], v[112:113], s[46:47]
	v_add_f64 v[195:196], v[0:1], v[195:196]
	v_add_f64 v[197:198], v[0:1], v[197:198]
	v_fma_f64 v[140:141], v[46:47], s[26:27], -v[140:141]
	v_fma_f64 v[136:137], v[46:47], s[50:51], -v[136:137]
	v_add_f64 v[134:135], v[0:1], v[134:135]
	v_add_f64 v[116:117], v[116:117], v[126:127]
	;; [unrolled: 1-line block ×8, first 2 shown]
	v_fma_f64 v[26:27], v[108:109], s[34:35], -v[162:163]
	v_fma_f64 v[20:21], v[108:109], s[34:35], v[162:163]
	v_mul_f64 v[110:111], v[112:113], s[4:5]
	v_fma_f64 v[162:163], v[44:45], s[28:29], v[132:133]
	v_fma_f64 v[132:133], v[44:45], s[28:29], -v[132:133]
	v_add_f64 v[96:97], v[2:3], v[96:97]
	v_add_f64 v[92:93], v[2:3], v[92:93]
	;; [unrolled: 1-line block ×8, first 2 shown]
	v_mul_f64 v[116:117], v[86:87], s[46:47]
	v_add_f64 v[34:35], v[18:19], v[22:23]
	v_add_f64 v[156:157], v[156:157], v[158:159]
	;; [unrolled: 1-line block ×3, first 2 shown]
	v_fma_f64 v[16:17], v[108:109], s[50:51], -v[164:165]
	v_fma_f64 v[18:19], v[108:109], s[50:51], v[164:165]
	v_fma_f64 v[22:23], v[108:109], s[26:27], -v[166:167]
	v_fma_f64 v[24:25], v[108:109], s[26:27], v[166:167]
	v_mul_f64 v[108:109], v[112:113], s[38:39]
	v_add_f64 v[158:159], v[160:161], v[170:171]
	v_add_f64 v[160:161], v[176:177], v[172:173]
	;; [unrolled: 1-line block ×3, first 2 shown]
	v_fma_f64 v[166:167], v[44:45], s[30:31], v[130:131]
	v_fma_f64 v[172:173], v[44:45], s[48:49], v[146:147]
	v_add_f64 v[174:175], v[184:185], v[122:123]
	v_fma_f64 v[176:177], v[44:45], s[20:21], v[144:145]
	v_mul_f64 v[122:123], v[112:113], s[6:7]
	v_add_f64 v[170:171], v[180:181], v[182:183]
	v_fma_f64 v[178:179], v[44:45], s[24:25], v[102:103]
	v_fma_f64 v[146:147], v[44:45], s[48:49], -v[146:147]
	v_fma_f64 v[144:145], v[44:45], s[20:21], -v[144:145]
	;; [unrolled: 1-line block ×3, first 2 shown]
	v_add_f64 v[114:115], v[114:115], v[118:119]
	v_add_f64 v[10:11], v[10:11], v[34:35]
	;; [unrolled: 1-line block ×3, first 2 shown]
	v_fma_f64 v[162:163], v[48:49], s[26:27], v[110:111]
	v_fma_f64 v[110:111], v[48:49], s[26:27], -v[110:111]
	v_add_f64 v[8:9], v[8:9], v[36:37]
	v_fma_f64 v[36:37], v[88:89], s[50:51], -v[190:191]
	v_add_f64 v[20:21], v[2:3], v[20:21]
	v_add_f64 v[16:17], v[2:3], v[16:17]
	;; [unrolled: 1-line block ×6, first 2 shown]
	v_fma_f64 v[172:173], v[48:49], s[28:29], v[108:109]
	v_add_f64 v[164:165], v[176:177], v[164:165]
	v_fma_f64 v[176:177], v[48:49], s[48:49], v[142:143]
	v_mul_f64 v[166:167], v[112:113], s[22:23]
	v_add_f64 v[170:171], v[178:179], v[170:171]
	v_fma_f64 v[118:119], v[48:49], s[24:25], -v[122:123]
	v_fma_f64 v[108:109], v[48:49], s[28:29], -v[108:109]
	v_add_f64 v[130:131], v[130:131], v[136:137]
	v_fma_f64 v[136:137], v[48:49], s[48:49], -v[142:143]
	v_fma_f64 v[142:143], v[88:89], s[26:27], -v[213:214]
	v_add_f64 v[174:175], v[162:163], v[174:175]
	v_fma_f64 v[162:163], v[48:49], s[24:25], v[122:123]
	v_add_f64 v[122:123], v[2:3], v[52:53]
	v_fma_f64 v[52:53], v[62:63], s[48:49], -v[203:204]
	v_add_f64 v[110:111], v[110:111], v[114:115]
	v_add_f64 v[4:5], v[4:5], v[8:9]
	;; [unrolled: 1-line block ×4, first 2 shown]
	v_fma_f64 v[156:157], v[48:49], s[50:51], v[166:167]
	v_add_f64 v[98:99], v[108:109], v[98:99]
	v_add_f64 v[118:119], v[118:119], v[130:131]
	v_mul_f64 v[130:131], v[86:87], s[42:43]
	v_fma_f64 v[108:109], v[82:83], s[48:49], v[116:117]
	v_fma_f64 v[116:117], v[82:83], s[48:49], -v[116:117]
	v_add_f64 v[176:177], v[162:163], v[158:159]
	v_fma_f64 v[158:159], v[48:49], s[34:35], v[199:200]
	v_mul_f64 v[162:163], v[112:113], s[2:3]
	v_mul_f64 v[112:113], v[112:113], s[42:43]
	v_add_f64 v[178:179], v[156:157], v[160:161]
	v_add_f64 v[180:181], v[158:159], v[164:165]
	v_fma_f64 v[156:157], v[48:49], s[20:21], v[162:163]
	v_mul_f64 v[158:159], v[58:59], s[40:41]
	v_mul_f64 v[164:165], v[58:59], s[6:7]
	v_add_f64 v[170:171], v[156:157], v[170:171]
	v_fma_f64 v[156:157], v[62:63], s[50:51], v[158:159]
	v_fma_f64 v[126:127], v[62:63], s[24:25], -v[164:165]
	v_fma_f64 v[114:115], v[62:63], s[50:51], -v[158:159]
	v_add_f64 v[174:175], v[156:157], v[174:175]
	v_mul_f64 v[156:157], v[58:59], s[42:43]
	v_add_f64 v[110:111], v[114:115], v[110:111]
	v_fma_f64 v[160:161], v[62:63], s[30:31], v[156:157]
	v_fma_f64 v[138:139], v[62:63], s[30:31], -v[156:157]
	v_fma_f64 v[156:157], v[84:85], s[30:31], -v[223:224]
	v_add_f64 v[168:169], v[160:161], v[168:169]
	v_fma_f64 v[160:161], v[62:63], s[24:25], v[164:165]
	v_add_f64 v[98:99], v[138:139], v[98:99]
	v_mul_f64 v[138:139], v[86:87], s[16:17]
	v_add_f64 v[172:173], v[160:161], v[172:173]
	v_mul_f64 v[160:161], v[58:59], s[4:5]
	v_mul_f64 v[58:59], v[58:59], s[18:19]
	v_fma_f64 v[182:183], v[62:63], s[26:27], v[160:161]
	v_fma_f64 v[134:135], v[62:63], s[26:27], -v[160:161]
	v_add_f64 v[176:177], v[182:183], v[176:177]
	v_fma_f64 v[182:183], v[62:63], s[20:21], v[201:202]
	v_add_f64 v[118:119], v[134:135], v[118:119]
	v_mul_f64 v[134:135], v[86:87], s[44:45]
	v_add_f64 v[178:179], v[182:183], v[178:179]
	v_fma_f64 v[182:183], v[62:63], s[48:49], v[203:204]
	v_add_f64 v[180:181], v[182:183], v[180:181]
	v_fma_f64 v[182:183], v[62:63], s[28:29], v[205:206]
	v_add_f64 v[170:171], v[182:183], v[170:171]
	v_mul_f64 v[182:183], v[66:67], s[38:39]
	v_fma_f64 v[184:185], v[88:89], s[28:29], v[182:183]
	v_add_f64 v[174:175], v[184:185], v[174:175]
	v_mul_f64 v[184:185], v[66:67], s[12:13]
	v_mul_f64 v[66:67], v[66:67], s[44:45]
	v_fma_f64 v[186:187], v[88:89], s[48:49], v[184:185]
	v_add_f64 v[207:208], v[186:187], v[168:169]
	v_fma_f64 v[168:169], v[88:89], s[50:51], v[190:191]
	v_mul_f64 v[186:187], v[90:91], s[44:45]
	v_add_f64 v[172:173], v[168:169], v[172:173]
	v_fma_f64 v[168:169], v[88:89], s[20:21], v[209:210]
	v_add_f64 v[176:177], v[168:169], v[176:177]
	v_fma_f64 v[168:169], v[88:89], s[30:31], v[211:212]
	;; [unrolled: 2-line block ×5, first 2 shown]
	v_fma_f64 v[168:169], v[84:85], s[24:25], v[186:187]
	v_add_f64 v[170:171], v[170:171], v[207:208]
	v_mul_f64 v[207:208], v[90:91], s[52:53]
	v_add_f64 v[168:169], v[168:169], v[174:175]
	v_fma_f64 v[174:175], v[84:85], s[34:35], v[207:208]
	v_add_f64 v[172:173], v[174:175], v[172:173]
	v_fma_f64 v[174:175], v[84:85], s[48:49], v[219:220]
	;; [unrolled: 2-line block ×5, first 2 shown]
	v_fma_f64 v[128:129], v[46:47], s[48:49], -v[128:129]
	v_add_f64 v[195:196], v[215:216], v[195:196]
	v_add_f64 v[128:129], v[128:129], v[197:198]
	v_fma_f64 v[197:198], v[44:45], s[50:51], v[124:125]
	v_fma_f64 v[124:125], v[44:45], s[50:51], -v[124:125]
	v_fma_f64 v[44:45], v[44:45], s[24:25], -v[102:103]
	v_mul_f64 v[102:103], v[28:29], s[6:7]
	v_add_f64 v[195:196], v[197:198], v[195:196]
	v_add_f64 v[124:125], v[124:125], v[128:129]
	v_fma_f64 v[128:129], v[48:49], s[30:31], v[112:113]
	v_fma_f64 v[112:113], v[48:49], s[30:31], -v[112:113]
	v_add_f64 v[128:129], v[128:129], v[195:196]
	v_add_f64 v[112:113], v[112:113], v[124:125]
	v_fma_f64 v[124:125], v[62:63], s[34:35], v[58:59]
	v_fma_f64 v[58:59], v[62:63], s[34:35], -v[58:59]
	;; [unrolled: 4-line block ×3, first 2 shown]
	v_fma_f64 v[46:47], v[46:47], s[30:31], -v[106:107]
	v_mul_f64 v[106:107], v[12:13], s[10:11]
	v_fma_f64 v[66:67], v[88:89], s[24:25], -v[66:67]
	v_add_f64 v[112:113], v[112:113], v[124:125]
	v_add_f64 v[124:125], v[0:1], v[193:194]
	;; [unrolled: 1-line block ×3, first 2 shown]
	v_mul_f64 v[66:67], v[86:87], s[4:5]
	v_add_f64 v[124:125], v[128:129], v[124:125]
	v_add_f64 v[128:129], v[0:1], v[154:155]
	v_fma_f64 v[154:155], v[84:85], s[26:27], -v[221:222]
	v_fma_f64 v[158:159], v[82:83], s[26:27], v[66:67]
	v_fma_f64 v[66:67], v[82:83], s[26:27], -v[66:67]
	v_add_f64 v[124:125], v[146:147], v[124:125]
	v_add_f64 v[128:129], v[150:151], v[128:129]
	v_fma_f64 v[146:147], v[88:89], s[20:21], -v[209:210]
	v_fma_f64 v[150:151], v[88:89], s[48:49], -v[184:185]
	v_add_f64 v[128:129], v[144:145], v[128:129]
	v_fma_f64 v[144:145], v[48:49], s[50:51], -v[166:167]
	v_add_f64 v[118:119], v[146:147], v[118:119]
	;; [unrolled: 2-line block ×4, first 2 shown]
	v_fma_f64 v[144:145], v[48:49], s[34:35], -v[199:200]
	v_fma_f64 v[48:49], v[48:49], s[20:21], -v[162:163]
	v_add_f64 v[118:119], v[146:147], v[118:119]
	v_add_f64 v[98:99], v[150:151], v[98:99]
	;; [unrolled: 1-line block ×3, first 2 shown]
	v_fma_f64 v[144:145], v[62:63], s[20:21], -v[201:202]
	v_fma_f64 v[62:63], v[62:63], s[28:29], -v[205:206]
	v_add_f64 v[52:53], v[52:53], v[128:129]
	v_add_f64 v[124:125], v[144:145], v[124:125]
	;; [unrolled: 1-line block ×4, first 2 shown]
	v_mul_f64 v[120:121], v[42:43], s[2:3]
	v_mul_f64 v[128:129], v[90:91], s[22:23]
	v_mul_f64 v[90:91], v[90:91], s[16:17]
	v_fma_f64 v[148:149], v[88:89], s[28:29], -v[182:183]
	v_add_f64 v[52:53], v[142:143], v[52:53]
	v_fma_f64 v[142:143], v[82:83], s[24:25], v[134:135]
	v_add_f64 v[140:141], v[140:141], v[144:145]
	v_add_f64 v[0:1], v[46:47], v[0:1]
	v_fma_f64 v[46:47], v[14:15], s[30:31], -v[106:107]
	v_mul_f64 v[144:145], v[56:57], s[16:17]
	v_fma_f64 v[152:153], v[84:85], s[50:51], v[128:129]
	v_add_f64 v[110:111], v[148:149], v[110:111]
	v_fma_f64 v[148:149], v[84:85], s[24:25], -v[186:187]
	v_fma_f64 v[134:135], v[82:83], s[24:25], -v[134:135]
	v_add_f64 v[52:53], v[156:157], v[52:53]
	v_add_f64 v[34:35], v[142:143], v[176:177]
	;; [unrolled: 1-line block ×5, first 2 shown]
	v_fma_f64 v[44:45], v[30:31], s[24:25], -v[102:103]
	v_fma_f64 v[140:141], v[88:89], s[30:31], -v[211:212]
	v_mul_f64 v[104:105], v[86:87], s[22:23]
	v_add_f64 v[152:153], v[152:153], v[180:181]
	v_add_f64 v[110:111], v[148:149], v[110:111]
	;; [unrolled: 1-line block ×4, first 2 shown]
	v_fma_f64 v[48:49], v[40:41], s[20:21], -v[120:121]
	v_add_f64 v[44:45], v[44:45], v[46:47]
	v_mul_f64 v[136:137], v[86:87], s[18:19]
	v_add_f64 v[124:125], v[140:141], v[124:125]
	v_fma_f64 v[140:141], v[84:85], s[28:29], v[90:91]
	v_fma_f64 v[90:91], v[84:85], s[28:29], -v[90:91]
	v_mul_f64 v[86:87], v[86:87], s[54:55]
	v_fma_f64 v[46:47], v[82:83], s[50:51], v[104:105]
	v_fma_f64 v[104:105], v[82:83], s[50:51], -v[104:105]
	v_add_f64 v[8:9], v[158:159], v[152:153]
	v_add_f64 v[110:111], v[116:117], v[110:111]
	;; [unrolled: 1-line block ×4, first 2 shown]
	v_fma_f64 v[62:63], v[88:89], s[34:35], -v[217:218]
	v_add_f64 v[44:45], v[48:49], v[44:45]
	v_fma_f64 v[48:49], v[60:61], s[28:29], -v[144:145]
	v_mul_f64 v[88:89], v[64:65], s[18:19]
	v_fma_f64 v[132:133], v[82:83], s[30:31], v[130:131]
	v_fma_f64 v[114:115], v[82:83], s[34:35], v[136:137]
	v_add_f64 v[112:113], v[140:141], v[112:113]
	v_add_f64 v[58:59], v[90:91], v[58:59]
	v_fma_f64 v[90:91], v[82:83], s[20:21], v[86:87]
	v_fma_f64 v[86:87], v[82:83], s[20:21], -v[86:87]
	v_add_f64 v[124:125], v[154:155], v[124:125]
	v_add_f64 v[46:47], v[46:47], v[170:171]
	;; [unrolled: 1-line block ×4, first 2 shown]
	v_mad_u32_u24 v26, 0x88, v192, 0
	v_add_f64 v[2:3], v[2:3], v[24:25]
	v_add_f64 v[24:25], v[6:7], v[10:11]
	v_mul_f64 v[6:7], v[12:13], s[2:3]
	v_mul_f64 v[10:11], v[12:13], s[40:41]
	v_lshlrev_b32_e32 v27, 7, v192
	v_add_f64 v[36:37], v[36:37], v[126:127]
	v_fma_f64 v[126:127], v[84:85], s[34:35], -v[207:208]
	v_add_f64 v[0:1], v[62:63], v[0:1]
	v_fma_f64 v[62:63], v[84:85], s[50:51], -v[128:129]
	;; [unrolled: 2-line block ×3, first 2 shown]
	v_mul_f64 v[84:85], v[78:79], s[22:23]
	v_fma_f64 v[128:129], v[82:83], s[28:29], v[138:139]
	v_fma_f64 v[138:139], v[82:83], s[28:29], -v[138:139]
	v_add_f64 v[114:115], v[114:115], v[174:175]
	v_add_f64 v[90:91], v[90:91], v[112:113]
	;; [unrolled: 1-line block ×4, first 2 shown]
	v_sub_nc_u32_e32 v140, v26, v27
	v_add_nc_u32_e32 v142, 0x1000, v140
	v_add_nc_u32_e32 v143, 0x1800, v140
	;; [unrolled: 1-line block ×3, first 2 shown]
	v_add_f64 v[36:37], v[126:127], v[36:37]
	v_fma_f64 v[126:127], v[82:83], s[30:31], -v[130:131]
	v_add_f64 v[0:1], v[62:63], v[0:1]
	v_fma_f64 v[130:131], v[82:83], s[34:35], -v[136:137]
	;; [unrolled: 2-line block ×3, first 2 shown]
	v_mul_f64 v[62:63], v[74:75], s[4:5]
	v_add_f64 v[82:83], v[108:109], v[168:169]
	v_add_f64 v[108:109], v[132:133], v[172:173]
	;; [unrolled: 1-line block ×4, first 2 shown]
	ds_write2_b64 v26, v[82:83], v[46:47] offset0:2 offset1:3
	ds_write2_b64 v26, v[108:109], v[114:115] offset0:4 offset1:5
	;; [unrolled: 1-line block ×3, first 2 shown]
	v_add_f64 v[0:1], v[66:67], v[0:1]
	v_add_f64 v[36:37], v[126:127], v[36:37]
	;; [unrolled: 1-line block ×4, first 2 shown]
	v_fma_f64 v[48:49], v[72:73], s[26:27], -v[62:63]
	ds_write2_b64 v26, v[4:5], v[8:9] offset1:1
	ds_write2_b64 v26, v[90:91], v[58:59] offset0:8 offset1:9
	v_mul_f64 v[4:5], v[12:13], s[18:19]
	v_mul_f64 v[8:9], v[12:13], s[4:5]
	ds_write2_b64 v26, v[52:53], v[86:87] offset0:10 offset1:11
	ds_write2_b64 v26, v[112:113], v[36:37] offset0:12 offset1:13
	ds_write_b64 v26, v[0:1] offset:128
	v_mul_f64 v[0:1], v[12:13], s[38:39]
	v_add_f64 v[34:35], v[48:49], v[44:45]
	v_mul_f64 v[44:45], v[12:13], s[44:45]
	v_mul_f64 v[12:13], v[12:13], s[46:47]
	v_fma_f64 v[46:47], v[14:15], s[30:31], v[106:107]
	v_fma_f64 v[48:49], v[14:15], s[20:21], -v[6:7]
	v_fma_f64 v[58:59], v[14:15], s[34:35], -v[4:5]
	v_fma_f64 v[4:5], v[14:15], s[34:35], v[4:5]
	v_fma_f64 v[66:67], v[14:15], s[26:27], -v[8:9]
	v_fma_f64 v[82:83], v[14:15], s[50:51], -v[10:11]
	ds_write2_b64 v26, v[98:99], v[110:111] offset0:14 offset1:15
	v_mul_f64 v[98:99], v[28:29], s[18:19]
	v_fma_f64 v[6:7], v[14:15], s[20:21], v[6:7]
	v_fma_f64 v[8:9], v[14:15], s[26:27], v[8:9]
	;; [unrolled: 1-line block ×3, first 2 shown]
	v_mul_f64 v[108:109], v[28:29], s[36:37]
	v_add_nc_u32_e32 v36, 0x400, v140
	v_add_nc_u32_e32 v52, 0x1c00, v140
	s_load_dwordx2 s[56:57], s[56:57], 0x0
	s_waitcnt lgkmcnt(0)
	s_barrier
	buffer_gl0_inv
	v_fma_f64 v[86:87], v[14:15], s[28:29], -v[0:1]
	v_fma_f64 v[0:1], v[14:15], s[28:29], v[0:1]
	v_fma_f64 v[90:91], v[14:15], s[24:25], -v[44:45]
	v_fma_f64 v[44:45], v[14:15], s[24:25], v[44:45]
	;; [unrolled: 2-line block ×3, first 2 shown]
	v_add_f64 v[14:15], v[46:47], v[100:101]
	v_mul_f64 v[46:47], v[28:29], s[38:39]
	v_add_f64 v[48:49], v[48:49], v[50:51]
	v_mul_f64 v[50:51], v[28:29], s[42:43]
	;; [unrolled: 2-line block ×5, first 2 shown]
	v_fma_f64 v[82:83], v[30:31], s[24:25], v[102:103]
	v_add_f64 v[6:7], v[6:7], v[122:123]
	v_add_f64 v[58:59], v[58:59], v[96:97]
	;; [unrolled: 1-line block ×4, first 2 shown]
	v_fma_f64 v[92:93], v[30:31], s[26:27], v[108:109]
	v_add_f64 v[32:33], v[86:87], v[104:105]
	v_add_f64 v[0:1], v[0:1], v[20:21]
	v_fma_f64 v[20:21], v[30:31], s[34:35], -v[98:99]
	v_fma_f64 v[86:87], v[30:31], s[34:35], v[98:99]
	v_add_f64 v[16:17], v[90:91], v[16:17]
	v_fma_f64 v[90:91], v[30:31], s[26:27], -v[108:109]
	v_add_f64 v[18:19], v[44:45], v[18:19]
	v_fma_f64 v[44:45], v[30:31], s[28:29], -v[46:47]
	v_fma_f64 v[46:47], v[30:31], s[28:29], v[46:47]
	v_fma_f64 v[96:97], v[30:31], s[30:31], -v[50:51]
	v_fma_f64 v[50:51], v[30:31], s[30:31], v[50:51]
	v_add_f64 v[2:3], v[12:13], v[2:3]
	v_fma_f64 v[12:13], v[30:31], s[48:49], -v[53:54]
	v_fma_f64 v[53:54], v[30:31], s[48:49], v[53:54]
	v_fma_f64 v[98:99], v[30:31], s[20:21], -v[94:95]
	v_mul_f64 v[100:101], v[42:43], s[4:5]
	v_fma_f64 v[94:95], v[30:31], s[20:21], v[94:95]
	v_fma_f64 v[104:105], v[30:31], s[50:51], -v[27:28]
	v_fma_f64 v[27:28], v[30:31], s[50:51], v[27:28]
	v_add_f64 v[14:15], v[82:83], v[14:15]
	v_mul_f64 v[29:30], v[42:43], s[46:47]
	v_mul_f64 v[82:83], v[42:43], s[22:23]
	;; [unrolled: 1-line block ×3, first 2 shown]
	v_add_f64 v[4:5], v[92:93], v[4:5]
	v_add_f64 v[20:21], v[20:21], v[48:49]
	v_mul_f64 v[48:49], v[42:43], s[6:7]
	v_add_f64 v[6:7], v[86:87], v[6:7]
	v_add_f64 v[58:59], v[90:91], v[58:59]
	;; [unrolled: 1-line block ×4, first 2 shown]
	v_mul_f64 v[66:67], v[42:43], s[52:53]
	v_add_f64 v[8:9], v[46:47], v[8:9]
	v_add_f64 v[10:11], v[50:51], v[10:11]
	v_mul_f64 v[42:43], v[42:43], s[42:43]
	v_add_f64 v[12:13], v[12:13], v[32:33]
	v_fma_f64 v[31:32], v[40:41], s[20:21], v[120:121]
	v_add_f64 v[37:38], v[96:97], v[37:38]
	v_fma_f64 v[46:47], v[40:41], s[26:27], -v[100:101]
	v_fma_f64 v[50:51], v[40:41], s[26:27], v[100:101]
	v_add_f64 v[0:1], v[53:54], v[0:1]
	v_add_f64 v[2:3], v[27:28], v[2:3]
	v_mul_f64 v[96:97], v[56:57], s[40:41]
	v_fma_f64 v[90:91], v[40:41], s[48:49], -v[29:30]
	v_fma_f64 v[29:30], v[40:41], s[48:49], v[29:30]
	v_fma_f64 v[27:28], v[40:41], s[50:51], -v[82:83]
	v_fma_f64 v[53:54], v[40:41], s[28:29], -v[102:103]
	v_add_f64 v[16:17], v[98:99], v[16:17]
	v_fma_f64 v[92:93], v[40:41], s[24:25], -v[48:49]
	v_fma_f64 v[48:49], v[40:41], s[24:25], v[48:49]
	v_fma_f64 v[86:87], v[40:41], s[28:29], v[102:103]
	v_add_f64 v[18:19], v[94:95], v[18:19]
	v_fma_f64 v[82:83], v[40:41], s[50:51], v[82:83]
	v_fma_f64 v[94:95], v[40:41], s[34:35], -v[66:67]
	v_fma_f64 v[66:67], v[40:41], s[34:35], v[66:67]
	v_mul_f64 v[98:99], v[56:57], s[42:43]
	v_fma_f64 v[100:101], v[40:41], s[30:31], -v[42:43]
	v_fma_f64 v[39:40], v[40:41], s[30:31], v[42:43]
	v_add_f64 v[14:15], v[31:32], v[14:15]
	v_mul_f64 v[31:32], v[56:57], s[6:7]
	v_add_f64 v[20:21], v[46:47], v[20:21]
	v_add_f64 v[6:7], v[50:51], v[6:7]
	v_mul_f64 v[46:47], v[56:57], s[4:5]
	v_mul_f64 v[50:51], v[56:57], s[54:55]
	v_add_f64 v[22:23], v[104:105], v[22:23]
	v_add_f64 v[43:44], v[90:91], v[44:45]
	;; [unrolled: 1-line block ×3, first 2 shown]
	v_mul_f64 v[29:30], v[56:57], s[12:13]
	v_add_f64 v[12:13], v[27:28], v[12:13]
	v_fma_f64 v[27:28], v[60:61], s[28:29], v[144:145]
	v_add_f64 v[41:42], v[53:54], v[58:59]
	v_add_f64 v[10:11], v[48:49], v[10:11]
	v_mul_f64 v[48:49], v[56:57], s[18:19]
	v_fma_f64 v[53:54], v[60:61], s[50:51], -v[96:97]
	v_add_f64 v[4:5], v[86:87], v[4:5]
	v_add_f64 v[37:38], v[92:93], v[37:38]
	;; [unrolled: 1-line block ×3, first 2 shown]
	v_fma_f64 v[55:56], v[60:61], s[50:51], v[96:97]
	v_fma_f64 v[57:58], v[60:61], s[30:31], -v[98:99]
	v_add_f64 v[16:17], v[94:95], v[16:17]
	v_fma_f64 v[82:83], v[60:61], s[30:31], v[98:99]
	v_add_f64 v[18:19], v[66:67], v[18:19]
	v_fma_f64 v[66:67], v[60:61], s[24:25], -v[31:32]
	v_fma_f64 v[31:32], v[60:61], s[24:25], v[31:32]
	v_add_f64 v[2:3], v[39:40], v[2:3]
	v_fma_f64 v[39:40], v[60:61], s[26:27], -v[46:47]
	v_fma_f64 v[45:46], v[60:61], s[26:27], v[46:47]
	v_fma_f64 v[86:87], v[60:61], s[20:21], -v[50:51]
	v_mul_f64 v[90:91], v[64:65], s[38:39]
	v_fma_f64 v[50:51], v[60:61], s[20:21], v[50:51]
	v_fma_f64 v[92:93], v[60:61], s[48:49], -v[29:30]
	v_fma_f64 v[29:30], v[60:61], s[48:49], v[29:30]
	v_mul_f64 v[94:95], v[64:65], s[12:13]
	v_add_f64 v[14:15], v[27:28], v[14:15]
	v_mul_f64 v[27:28], v[64:65], s[22:23]
	v_fma_f64 v[96:97], v[60:61], s[34:35], -v[48:49]
	v_fma_f64 v[47:48], v[60:61], s[34:35], v[48:49]
	v_add_f64 v[20:21], v[53:54], v[20:21]
	v_mul_f64 v[53:54], v[64:65], s[54:55]
	v_add_f64 v[6:7], v[55:56], v[6:7]
	v_add_f64 v[41:42], v[57:58], v[41:42]
	v_mul_f64 v[55:56], v[64:65], s[10:11]
	v_add_f64 v[4:5], v[82:83], v[4:5]
	v_mul_f64 v[57:58], v[64:65], s[4:5]
	v_add_f64 v[43:44], v[66:67], v[43:44]
	v_add_f64 v[8:9], v[31:32], v[8:9]
	v_mul_f64 v[31:32], v[64:65], s[44:45]
	v_add_f64 v[37:38], v[39:40], v[37:38]
	v_add_f64 v[10:11], v[45:46], v[10:11]
	v_fma_f64 v[39:40], v[80:81], s[34:35], v[88:89]
	v_fma_f64 v[45:46], v[80:81], s[28:29], -v[90:91]
	v_fma_f64 v[59:60], v[80:81], s[28:29], v[90:91]
	v_add_f64 v[0:1], v[50:51], v[0:1]
	v_add_f64 v[18:19], v[29:30], v[18:19]
	v_fma_f64 v[49:50], v[80:81], s[48:49], -v[94:95]
	v_fma_f64 v[64:65], v[80:81], s[48:49], v[94:95]
	v_fma_f64 v[29:30], v[80:81], s[50:51], -v[27:28]
	v_add_f64 v[22:23], v[100:101], v[22:23]
	v_add_f64 v[2:3], v[47:48], v[2:3]
	v_fma_f64 v[27:28], v[80:81], s[50:51], v[27:28]
	v_fma_f64 v[47:48], v[80:81], s[20:21], -v[53:54]
	v_mul_f64 v[88:89], v[78:79], s[44:45]
	v_add_f64 v[12:13], v[86:87], v[12:13]
	v_add_f64 v[16:17], v[92:93], v[16:17]
	v_fma_f64 v[53:54], v[80:81], s[20:21], v[53:54]
	v_fma_f64 v[66:67], v[80:81], s[30:31], -v[55:56]
	v_fma_f64 v[55:56], v[80:81], s[30:31], v[55:56]
	v_fma_f64 v[82:83], v[80:81], s[26:27], -v[57:58]
	;; [unrolled: 2-line block ×3, first 2 shown]
	v_fma_f64 v[31:32], v[80:81], s[24:25], v[31:32]
	v_add_f64 v[14:15], v[39:40], v[14:15]
	v_add_f64 v[20:21], v[45:46], v[20:21]
	v_mul_f64 v[39:40], v[78:79], s[2:3]
	v_add_f64 v[6:7], v[59:60], v[6:7]
	v_mul_f64 v[45:46], v[78:79], s[52:53]
	;; [unrolled: 2-line block ×5, first 2 shown]
	v_mul_f64 v[64:65], v[78:79], s[16:17]
	v_add_f64 v[22:23], v[96:97], v[22:23]
	v_add_f64 v[8:9], v[27:28], v[8:9]
	;; [unrolled: 1-line block ×3, first 2 shown]
	v_fma_f64 v[37:38], v[76:77], s[50:51], v[84:85]
	v_fma_f64 v[47:48], v[76:77], s[24:25], -v[88:89]
	v_add_f64 v[10:11], v[53:54], v[10:11]
	v_add_f64 v[12:13], v[66:67], v[12:13]
	;; [unrolled: 1-line block ×6, first 2 shown]
	v_fma_f64 v[31:32], v[76:77], s[24:25], v[88:89]
	v_fma_f64 v[53:54], v[76:77], s[20:21], -v[39:40]
	v_fma_f64 v[39:40], v[76:77], s[20:21], v[39:40]
	v_fma_f64 v[55:56], v[76:77], s[34:35], -v[45:46]
	;; [unrolled: 2-line block ×5, first 2 shown]
	v_fma_f64 v[80:81], v[76:77], s[28:29], -v[64:65]
	v_fma_f64 v[64:65], v[76:77], s[28:29], v[64:65]
	v_mul_f64 v[82:83], v[74:75], s[46:47]
	v_fma_f64 v[43:44], v[76:77], s[30:31], v[43:44]
	v_mul_f64 v[76:77], v[74:75], s[22:23]
	v_add_f64 v[22:23], v[86:87], v[22:23]
	v_mul_f64 v[84:85], v[74:75], s[42:43]
	v_add_f64 v[14:15], v[37:38], v[14:15]
	v_mul_f64 v[37:38], v[74:75], s[18:19]
	v_mul_f64 v[86:87], v[74:75], s[44:45]
	v_add_f64 v[20:21], v[47:48], v[20:21]
	v_mul_f64 v[47:48], v[74:75], s[16:17]
	v_mul_f64 v[74:75], v[74:75], s[54:55]
	v_add_f64 v[6:7], v[31:32], v[6:7]
	v_add_f64 v[31:32], v[53:54], v[41:42]
	;; [unrolled: 1-line block ×3, first 2 shown]
	v_fma_f64 v[61:62], v[72:73], s[26:27], v[62:63]
	v_add_f64 v[27:28], v[57:58], v[27:28]
	v_add_f64 v[45:46], v[45:46], v[8:9]
	;; [unrolled: 1-line block ×7, first 2 shown]
	v_fma_f64 v[57:58], v[72:73], s[48:49], -v[82:83]
	v_fma_f64 v[59:60], v[72:73], s[48:49], v[82:83]
	v_fma_f64 v[64:65], v[72:73], s[50:51], -v[76:77]
	v_add_f64 v[22:23], v[80:81], v[22:23]
	v_fma_f64 v[66:67], v[72:73], s[30:31], -v[84:85]
	v_fma_f64 v[78:79], v[72:73], s[30:31], v[84:85]
	v_fma_f64 v[80:81], v[72:73], s[34:35], -v[37:38]
	v_fma_f64 v[82:83], v[72:73], s[24:25], -v[86:87]
	v_fma_f64 v[84:85], v[72:73], s[24:25], v[86:87]
	v_fma_f64 v[86:87], v[72:73], s[28:29], -v[47:48]
	v_fma_f64 v[88:89], v[72:73], s[20:21], -v[74:75]
	v_fma_f64 v[74:75], v[72:73], s[20:21], v[74:75]
	v_add_f64 v[18:19], v[43:44], v[18:19]
	v_fma_f64 v[42:43], v[72:73], s[28:29], v[47:48]
	v_fma_f64 v[47:48], v[72:73], s[34:35], v[37:38]
	v_add_f64 v[4:5], v[39:40], v[4:5]
	v_fma_f64 v[76:77], v[72:73], s[50:51], v[76:77]
	v_add_f64 v[61:62], v[61:62], v[14:15]
	v_add_nc_u32_e32 v92, 0x2800, v140
	v_add_nc_u32_e32 v104, 0x2400, v140
	ds_read_b64 v[90:91], v140 offset:13056
	ds_read2_b64 v[0:3], v140 offset1:102
	ds_read2_b64 v[38:41], v36 offset0:76 offset1:178
	ds_read2_b64 v[8:11], v141 offset0:152 offset1:254
	v_add_f64 v[57:58], v[57:58], v[20:21]
	v_add_f64 v[59:60], v[59:60], v[6:7]
	;; [unrolled: 1-line block ×3, first 2 shown]
	v_and_b32_e32 v6, 0xff, v192
	v_add_f64 v[29:30], v[66:67], v[29:30]
	v_add_f64 v[44:45], v[78:79], v[45:46]
	;; [unrolled: 1-line block ×4, first 2 shown]
	v_mul_lo_u16 v33, 0xf1, v6
	v_add_f64 v[65:66], v[86:87], v[16:17]
	v_add_f64 v[72:73], v[88:89], v[22:23]
	;; [unrolled: 1-line block ×6, first 2 shown]
	v_lshrrev_b16 v144, 12, v33
	v_add_f64 v[74:75], v[76:77], v[4:5]
	ds_read2_b64 v[16:19], v142 offset0:100 offset1:202
	ds_read2_b64 v[4:7], v143 offset0:48 offset1:150
	;; [unrolled: 1-line block ×5, first 2 shown]
	s_waitcnt lgkmcnt(0)
	v_mul_lo_u16 v33, v144, 17
	s_barrier
	buffer_gl0_inv
	ds_write2_b64 v26, v[24:25], v[34:35] offset1:1
	ds_write2_b64 v26, v[57:58], v[31:32] offset0:2 offset1:3
	ds_write2_b64 v26, v[29:30], v[27:28] offset0:4 offset1:5
	;; [unrolled: 1-line block ×3, first 2 shown]
	v_sub_nc_u16 v145, v192, v33
	v_mov_b32_e32 v24, 8
	ds_write2_b64 v26, v[72:73], v[55:56] offset0:8 offset1:9
	ds_write2_b64 v26, v[42:43], v[53:54] offset0:10 offset1:11
	;; [unrolled: 1-line block ×4, first 2 shown]
	v_lshlrev_b32_sdwa v24, v24, v145 dst_sel:DWORD dst_unused:UNUSED_PAD src0_sel:DWORD src1_sel:BYTE_0
	ds_write_b64 v26, v[61:62] offset:128
	s_waitcnt lgkmcnt(0)
	s_barrier
	buffer_gl0_inv
	s_clause 0xf
	global_load_dwordx4 v[42:45], v24, s[8:9] offset:240
	global_load_dwordx4 v[53:56], v24, s[8:9]
	global_load_dwordx4 v[57:60], v24, s[8:9] offset:16
	global_load_dwordx4 v[61:64], v24, s[8:9] offset:224
	;; [unrolled: 1-line block ×14, first 2 shown]
	ds_read_b64 v[65:66], v140 offset:13056
	ds_read2_b64 v[24:27], v140 offset1:102
	ds_read2_b64 v[80:83], v36 offset0:76 offset1:178
	ds_read2_b64 v[110:113], v92 offset0:148 offset1:250
	s_waitcnt vmcnt(15)
	v_mul_f64 v[46:47], v[90:91], v[44:45]
	s_waitcnt vmcnt(14)
	v_mul_f64 v[84:85], v[2:3], v[55:56]
	s_waitcnt vmcnt(13)
	v_mul_f64 v[86:87], v[38:39], v[59:60]
	s_waitcnt lgkmcnt(3)
	v_mul_f64 v[44:45], v[65:66], v[44:45]
	s_waitcnt lgkmcnt(2)
	v_mul_f64 v[55:56], v[26:27], v[55:56]
	;; [unrolled: 2-line block ×3, first 2 shown]
	s_waitcnt vmcnt(0)
	v_mul_f64 v[172:173], v[6:7], v[30:31]
	v_fma_f64 v[36:37], v[65:66], v[42:43], -v[46:47]
	v_fma_f64 v[88:89], v[26:27], v[53:54], -v[84:85]
	v_mul_f64 v[26:27], v[50:51], v[63:64]
	v_fma_f64 v[46:47], v[80:81], v[57:58], -v[86:87]
	v_fma_f64 v[92:93], v[90:91], v[42:43], v[44:45]
	v_fma_f64 v[94:95], v[2:3], v[53:54], v[55:56]
	s_waitcnt lgkmcnt(0)
	v_mul_f64 v[2:3], v[112:113], v[63:64]
	v_mul_f64 v[42:43], v[40:41], v[74:75]
	;; [unrolled: 1-line block ×3, first 2 shown]
	v_fma_f64 v[84:85], v[38:39], v[57:58], v[59:60]
	v_mul_f64 v[63:64], v[82:83], v[74:75]
	ds_read2_b64 v[53:56], v141 offset0:152 offset1:254
	ds_read2_b64 v[57:60], v104 offset0:72 offset1:174
	v_add_f64 v[138:139], v[88:89], -v[36:37]
	v_fma_f64 v[26:27], v[112:113], v[61:62], -v[26:27]
	v_add_f64 v[154:155], v[94:95], v[92:93]
	v_fma_f64 v[86:87], v[50:51], v[61:62], v[2:3]
	v_fma_f64 v[42:43], v[82:83], v[72:73], -v[42:43]
	v_mul_f64 v[2:3], v[110:111], v[78:79]
	v_fma_f64 v[38:39], v[110:111], v[76:77], -v[44:45]
	v_mul_f64 v[44:45], v[8:9], v[98:99]
	v_mul_f64 v[50:51], v[22:23], v[102:103]
	v_fma_f64 v[78:79], v[40:41], v[72:73], v[63:64]
	s_waitcnt lgkmcnt(1)
	v_mul_f64 v[65:66], v[53:54], v[98:99]
	v_mul_f64 v[80:81], v[55:56], v[108:109]
	ds_read2_b64 v[72:75], v142 offset0:100 offset1:202
	v_add_f64 v[182:183], v[0:1], v[94:95]
	v_mul_f64 v[156:157], v[138:139], s[10:11]
	v_add_f64 v[124:125], v[46:47], -v[26:27]
	v_mul_f64 v[158:159], v[138:139], s[6:7]
	v_mul_f64 v[160:161], v[138:139], s[12:13]
	;; [unrolled: 1-line block ×3, first 2 shown]
	v_add_f64 v[126:127], v[84:85], v[86:87]
	v_mul_f64 v[174:175], v[138:139], s[16:17]
	v_fma_f64 v[82:83], v[48:49], v[76:77], v[2:3]
	v_add_f64 v[132:133], v[42:43], -v[38:39]
	v_fma_f64 v[44:45], v[53:54], v[96:97], -v[44:45]
	s_waitcnt lgkmcnt(1)
	v_mul_f64 v[53:54], v[59:60], v[102:103]
	v_fma_f64 v[40:41], v[59:60], v[100:101], -v[50:51]
	v_mul_f64 v[59:60], v[10:11], v[108:109]
	v_mul_f64 v[76:77], v[20:21], v[116:117]
	v_fma_f64 v[102:103], v[8:9], v[96:97], v[65:66]
	v_mul_f64 v[8:9], v[57:58], v[116:117]
	v_mul_f64 v[66:67], v[14:15], v[136:137]
	v_fma_f64 v[98:99], v[10:11], v[106:107], v[80:81]
	s_waitcnt lgkmcnt(0)
	v_mul_f64 v[10:11], v[72:73], v[122:123]
	v_fma_f64 v[61:62], v[154:155], s[30:31], v[156:157]
	v_mul_f64 v[128:129], v[124:125], s[2:3]
	v_fma_f64 v[63:64], v[154:155], s[24:25], v[158:159]
	v_mul_f64 v[130:131], v[124:125], s[18:19]
	v_mul_f64 v[162:163], v[124:125], s[10:11]
	;; [unrolled: 1-line block ×3, first 2 shown]
	v_add_f64 v[2:3], v[78:79], v[82:83]
	v_mul_f64 v[48:49], v[132:133], s[18:19]
	v_mul_f64 v[50:51], v[132:133], s[36:37]
	v_fma_f64 v[104:105], v[22:23], v[100:101], v[53:54]
	v_add_f64 v[118:119], v[44:45], -v[40:41]
	v_mul_f64 v[22:23], v[16:17], v[122:123]
	v_mul_f64 v[122:123], v[132:133], s[6:7]
	v_fma_f64 v[100:101], v[20:21], v[114:115], v[8:9]
	v_add_f64 v[90:91], v[0:1], v[61:62]
	v_fma_f64 v[108:109], v[126:127], s[20:21], v[128:129]
	v_add_f64 v[110:111], v[0:1], v[63:64]
	v_fma_f64 v[112:113], v[126:127], s[34:35], v[130:131]
	v_fma_f64 v[60:61], v[55:56], v[106:107], -v[59:60]
	v_fma_f64 v[62:63], v[57:58], v[114:115], -v[76:77]
	v_fma_f64 v[106:107], v[154:155], s[48:49], v[160:161]
	ds_read2_b64 v[54:57], v52 offset0:124 offset1:226
	v_fma_f64 v[80:81], v[2:3], s[34:35], v[48:49]
	v_fma_f64 v[96:97], v[2:3], s[26:27], v[50:51]
	v_add_f64 v[58:59], v[102:103], v[104:105]
	v_fma_f64 v[130:131], v[126:127], s[34:35], -v[130:131]
	v_fma_f64 v[64:65], v[72:73], v[120:121], -v[22:23]
	;; [unrolled: 1-line block ×4, first 2 shown]
	v_add_f64 v[20:21], v[98:99], v[100:101]
	v_fma_f64 v[50:51], v[2:3], s[26:27], -v[50:51]
	v_add_f64 v[52:53], v[108:109], v[90:91]
	v_mul_f64 v[108:109], v[12:13], v[152:153]
	v_add_f64 v[76:77], v[112:113], v[110:111]
	v_mul_f64 v[112:113], v[118:119], s[4:5]
	v_mul_f64 v[110:111], v[118:119], s[38:39]
	v_add_f64 v[114:115], v[60:61], -v[62:63]
	s_waitcnt lgkmcnt(0)
	v_mul_f64 v[8:9], v[56:57], v[136:137]
	v_fma_f64 v[66:67], v[56:57], v[134:135], -v[66:67]
	v_mul_f64 v[56:57], v[18:19], v[148:149]
	v_fma_f64 v[90:91], v[16:17], v[120:121], v[10:11]
	v_mul_f64 v[10:11], v[74:75], v[148:149]
	v_add_f64 v[116:117], v[0:1], v[106:107]
	v_fma_f64 v[120:121], v[126:127], s[30:31], v[162:163]
	v_fma_f64 v[162:163], v[126:127], s[30:31], -v[162:163]
	v_add_f64 v[16:17], v[80:81], v[52:53]
	v_add_f64 v[80:81], v[96:97], v[76:77]
	v_fma_f64 v[136:137], v[58:59], s[26:27], v[112:113]
	v_fma_f64 v[148:149], v[58:59], s[28:29], v[110:111]
	v_mul_f64 v[22:23], v[114:115], s[40:41]
	v_mul_f64 v[52:53], v[114:115], s[42:43]
	v_fma_f64 v[96:97], v[14:15], v[134:135], v[8:9]
	v_add_f64 v[106:107], v[64:65], -v[66:67]
	v_fma_f64 v[72:73], v[74:75], v[146:147], -v[56:57]
	v_mul_f64 v[8:9], v[54:55], v[152:153]
	v_fma_f64 v[74:75], v[54:55], v[150:151], -v[108:109]
	v_fma_f64 v[76:77], v[18:19], v[146:147], v[10:11]
	v_add_f64 v[10:11], v[120:121], v[116:117]
	v_fma_f64 v[54:55], v[2:3], s[24:25], v[122:123]
	v_mul_f64 v[120:121], v[118:119], s[2:3]
	v_mul_f64 v[116:117], v[114:115], s[16:17]
	v_fma_f64 v[122:123], v[2:3], s[24:25], -v[122:123]
	v_fma_f64 v[112:113], v[58:59], s[26:27], -v[112:113]
	;; [unrolled: 1-line block ×3, first 2 shown]
	v_add_f64 v[108:109], v[136:137], v[16:17]
	v_add_f64 v[146:147], v[148:149], v[80:81]
	v_fma_f64 v[148:149], v[20:21], s[50:51], v[22:23]
	v_fma_f64 v[152:153], v[20:21], s[30:31], v[52:53]
	v_add_f64 v[14:15], v[90:91], v[96:97]
	v_mul_f64 v[16:17], v[106:107], s[38:39]
	v_mul_f64 v[18:19], v[106:107], s[12:13]
	v_fma_f64 v[80:81], v[12:13], v[150:151], v[8:9]
	v_add_f64 v[56:57], v[72:73], -v[74:75]
	ds_read2_b64 v[134:137], v143 offset0:48 offset1:150
	v_mul_f64 v[188:189], v[106:107], s[22:23]
	v_add_f64 v[54:55], v[54:55], v[10:11]
	v_fma_f64 v[150:151], v[58:59], s[20:21], v[120:121]
	v_mul_f64 v[190:191], v[106:107], s[54:55]
	v_fma_f64 v[120:121], v[58:59], s[20:21], -v[120:121]
	v_fma_f64 v[22:23], v[20:21], s[50:51], -v[22:23]
	;; [unrolled: 1-line block ×3, first 2 shown]
	s_waitcnt lgkmcnt(0)
	s_barrier
	buffer_gl0_inv
	v_add_f64 v[148:149], v[148:149], v[108:109]
	v_add_f64 v[146:147], v[152:153], v[146:147]
	v_mul_f64 v[108:109], v[106:107], s[18:19]
	v_fma_f64 v[152:153], v[14:15], s[28:29], v[16:17]
	v_fma_f64 v[164:165], v[14:15], s[48:49], v[18:19]
	v_add_f64 v[8:9], v[76:77], v[80:81]
	v_mul_f64 v[10:11], v[56:57], s[44:45]
	v_mul_f64 v[12:13], v[56:57], s[2:3]
	;; [unrolled: 1-line block ×5, first 2 shown]
	v_add_f64 v[54:55], v[150:151], v[54:55]
	v_fma_f64 v[150:151], v[20:21], s[28:29], v[116:117]
	v_fma_f64 v[116:117], v[20:21], s[28:29], -v[116:117]
	v_fma_f64 v[16:17], v[14:15], s[28:29], -v[16:17]
	;; [unrolled: 1-line block ×3, first 2 shown]
	v_fma_f64 v[176:177], v[14:15], s[34:35], v[108:109]
	v_add_f64 v[148:149], v[152:153], v[148:149]
	v_add_f64 v[146:147], v[164:165], v[146:147]
	v_fma_f64 v[152:153], v[8:9], s[24:25], v[10:11]
	v_fma_f64 v[164:165], v[8:9], s[20:21], v[12:13]
	;; [unrolled: 1-line block ×3, first 2 shown]
	v_mul_f64 v[166:167], v[138:139], s[18:19]
	v_fma_f64 v[34:35], v[134:135], v[32:33], -v[34:35]
	v_mul_f64 v[134:135], v[138:139], s[22:23]
	v_fma_f64 v[32:33], v[6:7], v[28:29], v[168:169]
	v_mul_f64 v[138:139], v[138:139], s[4:5]
	v_fma_f64 v[168:169], v[154:155], s[20:21], v[170:171]
	v_add_f64 v[150:151], v[150:151], v[54:55]
	v_mul_f64 v[54:55], v[56:57], s[22:23]
	v_fma_f64 v[28:29], v[136:137], v[28:29], -v[172:173]
	v_fma_f64 v[136:137], v[154:155], s[48:49], -v[160:161]
	;; [unrolled: 1-line block ×4, first 2 shown]
	v_add_f64 v[4:5], v[152:153], v[148:149]
	v_add_f64 v[6:7], v[164:165], v[146:147]
	v_fma_f64 v[146:147], v[154:155], s[30:31], -v[156:157]
	v_fma_f64 v[148:149], v[154:155], s[24:25], -v[158:159]
	;; [unrolled: 1-line block ×3, first 2 shown]
	v_fma_f64 v[156:157], v[154:155], s[28:29], v[174:175]
	v_fma_f64 v[158:159], v[154:155], s[28:29], -v[174:175]
	v_fma_f64 v[160:161], v[154:155], s[34:35], v[166:167]
	v_fma_f64 v[164:165], v[154:155], s[34:35], -v[166:167]
	;; [unrolled: 2-line block ×4, first 2 shown]
	v_add_f64 v[154:155], v[0:1], v[168:169]
	v_add_f64 v[150:151], v[176:177], v[150:151]
	v_fma_f64 v[168:169], v[8:9], s[50:51], v[54:55]
	v_fma_f64 v[174:175], v[126:127], s[26:27], v[178:179]
	v_mul_f64 v[176:177], v[124:125], s[40:41]
	v_mul_f64 v[134:135], v[132:133], s[38:39]
	v_add_f64 v[180:181], v[0:1], v[136:137]
	v_fma_f64 v[178:179], v[126:127], s[26:27], -v[178:179]
	v_add_f64 v[146:147], v[0:1], v[146:147]
	v_add_f64 v[148:149], v[0:1], v[148:149]
	;; [unrolled: 1-line block ×13, first 2 shown]
	v_fma_f64 v[150:151], v[126:127], s[50:51], v[176:177]
	v_fma_f64 v[154:155], v[2:3], s[28:29], v[134:135]
	v_mul_f64 v[168:169], v[132:133], s[42:43]
	v_add_f64 v[162:163], v[162:163], v[180:181]
	v_fma_f64 v[134:135], v[2:3], s[28:29], -v[134:135]
	v_add_f64 v[128:129], v[128:129], v[146:147]
	v_add_f64 v[130:131], v[130:131], v[148:149]
	;; [unrolled: 1-line block ×6, first 2 shown]
	v_fma_f64 v[150:151], v[2:3], s[30:31], v[168:169]
	v_mul_f64 v[154:155], v[118:119], s[46:47]
	v_add_f64 v[122:123], v[122:123], v[162:163]
	v_mul_f64 v[162:163], v[114:115], s[12:13]
	v_add_f64 v[48:49], v[48:49], v[128:129]
	v_add_f64 v[50:51], v[50:51], v[130:131]
	;; [unrolled: 1-line block ×6, first 2 shown]
	v_fma_f64 v[150:151], v[58:59], s[48:49], v[154:155]
	v_fma_f64 v[154:155], v[58:59], s[48:49], -v[154:155]
	v_add_f64 v[120:121], v[120:121], v[122:123]
	v_mul_f64 v[122:123], v[106:107], s[4:5]
	v_add_f64 v[48:49], v[112:113], v[48:49]
	v_add_f64 v[50:51], v[110:111], v[50:51]
	;; [unrolled: 1-line block ×4, first 2 shown]
	v_mul_f64 v[150:151], v[118:119], s[6:7]
	v_add_f64 v[134:135], v[154:155], v[134:135]
	v_add_f64 v[116:117], v[116:117], v[120:121]
	;; [unrolled: 1-line block ×5, first 2 shown]
	v_fma_f64 v[52:53], v[14:15], s[50:51], -v[188:189]
	v_fma_f64 v[174:175], v[58:59], s[24:25], v[150:151]
	v_add_f64 v[16:17], v[16:17], v[22:23]
	v_add_f64 v[18:19], v[18:19], v[48:49]
	;; [unrolled: 1-line block ×4, first 2 shown]
	v_mul_f64 v[174:175], v[114:115], s[6:7]
	v_add_f64 v[10:11], v[10:11], v[16:17]
	v_add_f64 v[12:13], v[12:13], v[18:19]
	;; [unrolled: 1-line block ×3, first 2 shown]
	v_fma_f64 v[184:185], v[20:21], s[24:25], v[174:175]
	v_fma_f64 v[174:175], v[20:21], s[24:25], -v[174:175]
	v_add_f64 v[148:149], v[148:149], v[30:31]
	v_add_f64 v[138:139], v[184:185], v[138:139]
	v_mul_f64 v[184:185], v[114:115], s[4:5]
	v_add_f64 v[50:51], v[174:175], v[134:135]
	v_add_f64 v[148:149], v[148:149], v[32:33]
	v_fma_f64 v[186:187], v[20:21], s[26:27], v[184:185]
	v_add_f64 v[22:23], v[52:53], v[50:51]
	v_add_f64 v[148:149], v[148:149], v[80:81]
	;; [unrolled: 1-line block ×3, first 2 shown]
	v_fma_f64 v[136:137], v[14:15], s[50:51], v[188:189]
	v_add_f64 v[148:149], v[148:149], v[96:97]
	v_add_f64 v[136:137], v[136:137], v[138:139]
	v_fma_f64 v[138:139], v[14:15], s[20:21], v[190:191]
	v_add_f64 v[148:149], v[148:149], v[100:101]
	v_add_f64 v[138:139], v[138:139], v[186:187]
	v_mul_f64 v[186:187], v[124:125], s[38:39]
	v_add_f64 v[148:149], v[148:149], v[104:105]
	v_fma_f64 v[193:194], v[126:127], s[28:29], v[186:187]
	v_add_f64 v[148:149], v[148:149], v[82:83]
	v_add_f64 v[158:159], v[193:194], v[158:159]
	v_mul_f64 v[193:194], v[124:125], s[44:45]
	v_mul_f64 v[124:125], v[124:125], s[46:47]
	v_add_f64 v[50:51], v[148:149], v[86:87]
	v_fma_f64 v[195:196], v[126:127], s[24:25], v[193:194]
	v_add_f64 v[164:165], v[195:196], v[164:165]
	v_mul_f64 v[195:196], v[132:133], s[12:13]
	v_fma_f64 v[197:198], v[2:3], s[48:49], v[195:196]
	v_fma_f64 v[152:153], v[2:3], s[48:49], -v[195:196]
	v_add_f64 v[158:159], v[197:198], v[158:159]
	v_mul_f64 v[197:198], v[132:133], s[2:3]
	v_mul_f64 v[132:133], v[132:133], s[22:23]
	v_fma_f64 v[199:200], v[2:3], s[20:21], v[197:198]
	v_add_f64 v[164:165], v[199:200], v[164:165]
	v_mul_f64 v[199:200], v[118:119], s[22:23]
	v_fma_f64 v[201:202], v[58:59], s[50:51], v[199:200]
	v_add_f64 v[158:159], v[201:202], v[158:159]
	v_mul_f64 v[201:202], v[118:119], s[52:53]
	v_mul_f64 v[118:119], v[118:119], s[42:43]
	v_fma_f64 v[203:204], v[58:59], s[34:35], v[201:202]
	v_add_f64 v[164:165], v[203:204], v[164:165]
	v_fma_f64 v[203:204], v[126:127], s[48:49], v[124:125]
	v_fma_f64 v[124:125], v[126:127], s[48:49], -v[124:125]
	v_add_f64 v[170:171], v[203:204], v[170:171]
	v_add_f64 v[124:125], v[124:125], v[172:173]
	v_fma_f64 v[172:173], v[2:3], s[50:51], v[132:133]
	v_fma_f64 v[132:133], v[2:3], s[50:51], -v[132:133]
	v_add_f64 v[170:171], v[172:173], v[170:171]
	v_fma_f64 v[172:173], v[126:127], s[28:29], -v[186:187]
	v_fma_f64 v[186:187], v[126:127], s[24:25], -v[193:194]
	;; [unrolled: 1-line block ×3, first 2 shown]
	v_add_f64 v[124:125], v[132:133], v[124:125]
	v_add_f64 v[132:133], v[172:173], v[160:161]
	;; [unrolled: 1-line block ×4, first 2 shown]
	v_fma_f64 v[156:157], v[2:3], s[20:21], -v[197:198]
	v_fma_f64 v[2:3], v[2:3], s[30:31], -v[168:169]
	;; [unrolled: 1-line block ×4, first 2 shown]
	v_add_f64 v[166:167], v[34:35], -v[28:29]
	v_add_f64 v[132:133], v[152:153], v[132:133]
	v_mul_f64 v[152:153], v[114:115], s[54:55]
	v_mul_f64 v[114:115], v[114:115], s[18:19]
	v_add_f64 v[156:157], v[156:157], v[160:161]
	v_fma_f64 v[160:161], v[58:59], s[30:31], v[118:119]
	v_fma_f64 v[118:119], v[58:59], s[30:31], -v[118:119]
	v_add_f64 v[2:3], v[2:3], v[126:127]
	v_fma_f64 v[58:59], v[58:59], s[24:25], -v[150:151]
	v_mul_f64 v[150:151], v[56:57], s[52:53]
	v_mul_f64 v[130:131], v[166:167], s[46:47]
	;; [unrolled: 1-line block ×6, first 2 shown]
	v_add_f64 v[132:133], v[168:169], v[132:133]
	v_fma_f64 v[168:169], v[20:21], s[48:49], v[162:163]
	v_fma_f64 v[112:113], v[20:21], s[34:35], v[114:115]
	v_add_f64 v[156:157], v[172:173], v[156:157]
	v_add_f64 v[160:161], v[160:161], v[170:171]
	;; [unrolled: 1-line block ×3, first 2 shown]
	v_fma_f64 v[124:125], v[20:21], s[20:21], v[152:153]
	v_mul_f64 v[172:173], v[106:107], s[10:11]
	v_fma_f64 v[114:115], v[20:21], s[34:35], -v[114:115]
	v_fma_f64 v[152:153], v[20:21], s[20:21], -v[152:153]
	v_mul_f64 v[106:107], v[106:107], s[44:45]
	v_fma_f64 v[162:163], v[20:21], s[48:49], -v[162:163]
	v_add_f64 v[2:3], v[58:59], v[2:3]
	v_fma_f64 v[20:21], v[20:21], s[26:27], -v[184:185]
	v_mul_f64 v[170:171], v[56:57], s[12:13]
	v_fma_f64 v[176:177], v[8:9], s[34:35], v[150:151]
	v_fma_f64 v[48:49], v[8:9], s[34:35], -v[150:151]
	v_fma_f64 v[110:111], v[128:129], s[48:49], v[130:131]
	v_fma_f64 v[154:155], v[128:129], s[50:51], v[146:147]
	;; [unrolled: 1-line block ×4, first 2 shown]
	v_fma_f64 v[150:151], v[128:129], s[28:29], -v[174:175]
	v_add_f64 v[164:165], v[168:169], v[164:165]
	v_add_f64 v[112:113], v[112:113], v[160:161]
	v_fma_f64 v[160:161], v[14:15], s[26:27], v[122:123]
	v_add_f64 v[124:125], v[124:125], v[158:159]
	v_fma_f64 v[168:169], v[14:15], s[30:31], v[172:173]
	v_add_f64 v[114:115], v[114:115], v[118:119]
	v_mul_f64 v[118:119], v[56:57], s[4:5]
	v_add_f64 v[132:133], v[152:153], v[132:133]
	v_mul_f64 v[152:153], v[56:57], s[42:43]
	v_add_f64 v[156:157], v[162:163], v[156:157]
	v_fma_f64 v[162:163], v[14:15], s[24:25], v[106:107]
	v_fma_f64 v[106:107], v[14:15], s[24:25], -v[106:107]
	v_mul_f64 v[56:57], v[56:57], s[16:17]
	v_fma_f64 v[172:173], v[14:15], s[30:31], -v[172:173]
	v_fma_f64 v[122:123], v[14:15], s[26:27], -v[122:123]
	v_add_f64 v[2:3], v[20:21], v[2:3]
	v_fma_f64 v[20:21], v[14:15], s[34:35], -v[108:109]
	v_fma_f64 v[14:15], v[14:15], s[20:21], -v[190:191]
	v_fma_f64 v[158:159], v[8:9], s[48:49], v[170:171]
	v_mul_f64 v[108:109], v[166:167], s[42:43]
	v_add_f64 v[52:53], v[176:177], v[136:137]
	v_fma_f64 v[136:137], v[128:129], s[34:35], v[120:121]
	v_add_f64 v[16:17], v[48:49], v[22:23]
	v_fma_f64 v[22:23], v[128:129], s[50:51], -v[146:147]
	v_add_f64 v[134:135], v[160:161], v[164:165]
	v_add_f64 v[4:5], v[110:111], v[4:5]
	v_add_f64 v[124:125], v[168:169], v[124:125]
	v_mul_f64 v[168:169], v[166:167], s[44:45]
	v_fma_f64 v[160:161], v[8:9], s[26:27], v[118:119]
	v_fma_f64 v[118:119], v[8:9], s[26:27], -v[118:119]
	v_fma_f64 v[164:165], v[8:9], s[30:31], v[152:153]
	v_fma_f64 v[152:153], v[8:9], s[30:31], -v[152:153]
	v_add_f64 v[112:113], v[162:163], v[112:113]
	v_add_f64 v[106:107], v[106:107], v[114:115]
	v_fma_f64 v[114:115], v[8:9], s[28:29], v[56:57]
	v_fma_f64 v[56:57], v[8:9], s[28:29], -v[56:57]
	v_mul_f64 v[162:163], v[166:167], s[54:55]
	v_add_f64 v[132:133], v[172:173], v[132:133]
	v_add_f64 v[122:123], v[122:123], v[156:157]
	;; [unrolled: 1-line block ×4, first 2 shown]
	v_fma_f64 v[14:15], v[8:9], s[50:51], -v[54:55]
	v_fma_f64 v[8:9], v[8:9], s[48:49], -v[170:171]
	v_add_f64 v[54:55], v[158:159], v[138:139]
	v_fma_f64 v[116:117], v[128:129], s[30:31], v[108:109]
	v_fma_f64 v[18:19], v[128:129], s[30:31], -v[108:109]
	v_fma_f64 v[108:109], v[128:129], s[26:27], -v[126:127]
	v_add_f64 v[6:7], v[154:155], v[6:7]
	v_add_f64 v[0:1], v[58:59], v[0:1]
	v_fma_f64 v[138:139], v[128:129], s[24:25], v[168:169]
	v_add_f64 v[124:125], v[160:161], v[124:125]
	v_add_f64 v[58:59], v[50:51], v[92:93]
	;; [unrolled: 1-line block ×3, first 2 shown]
	v_mov_b32_e32 v126, 0x908
	v_mov_b32_e32 v127, 3
	v_add_f64 v[112:113], v[114:115], v[112:113]
	v_add_f64 v[56:57], v[56:57], v[106:107]
	v_fma_f64 v[106:107], v[128:129], s[20:21], v[162:163]
	v_fma_f64 v[114:115], v[128:129], s[20:21], -v[162:163]
	v_add_f64 v[118:119], v[118:119], v[132:133]
	v_add_f64 v[122:123], v[152:153], v[122:123]
	v_fma_f64 v[132:133], v[128:129], s[24:25], -v[168:169]
	v_add_f64 v[14:15], v[14:15], v[20:21]
	v_add_f64 v[2:3], v[8:9], v[2:3]
	v_fma_f64 v[20:21], v[128:129], s[34:35], -v[120:121]
	v_fma_f64 v[8:9], v[128:129], s[48:49], -v[130:131]
	v_add_f64 v[110:111], v[116:117], v[52:53]
	v_add_f64 v[116:117], v[136:137], v[54:55]
	;; [unrolled: 1-line block ×8, first 2 shown]
	v_add_nc_u32_e32 v107, 0x2000, v140
	v_add_f64 v[122:123], v[150:151], v[122:123]
	v_add_f64 v[118:119], v[132:133], v[118:119]
	;; [unrolled: 1-line block ×3, first 2 shown]
	v_add_nc_u32_e32 v108, 0x2c00, v140
	v_add_f64 v[48:49], v[20:21], v[2:3]
	v_add_f64 v[56:57], v[8:9], v[10:11]
	v_mul_u32_u24_sdwa v2, v144, v126 dst_sel:DWORD dst_unused:UNUSED_PAD src0_sel:WORD_0 src1_sel:DWORD
	v_lshlrev_b32_sdwa v3, v127, v145 dst_sel:DWORD dst_unused:UNUSED_PAD src0_sel:DWORD src1_sel:BYTE_0
	v_add3_u32 v106, 0, v2, v3
	ds_write2_b64 v106, v[4:5], v[6:7] offset0:34 offset1:51
	ds_write2_b64 v106, v[58:59], v[0:1] offset1:17
	ds_write2_b64 v106, v[110:111], v[116:117] offset0:68 offset1:85
	ds_write2_b64 v106, v[120:121], v[124:125] offset0:102 offset1:119
	;; [unrolled: 1-line block ×6, first 2 shown]
	ds_write_b64 v106, v[54:55] offset:2176
	s_waitcnt lgkmcnt(0)
	s_barrier
	buffer_gl0_inv
	ds_read2_b64 v[0:3], v140 offset1:102
	ds_read2_b64 v[20:23], v141 offset0:33 offset1:135
	ds_read2_b64 v[4:7], v142 offset0:66 offset1:168
	;; [unrolled: 1-line block ×5, first 2 shown]
                                        ; implicit-def: $vgpr58_vgpr59
	s_and_saveexec_b32 s1, s0
	s_cbranch_execz .LBB0_15
; %bb.14:
	ds_read_b64 v[48:49], v140 offset:1632
	ds_read_b64 v[50:51], v140 offset:3944
	;; [unrolled: 1-line block ×6, first 2 shown]
.LBB0_15:
	s_or_b32 exec_lo, exec_lo, s1
	v_add_f64 v[92:93], v[94:95], -v[92:93]
	v_add_f64 v[94:95], v[88:89], v[36:37]
	v_add_f64 v[88:89], v[24:25], v[88:89]
	v_add_f64 v[76:77], v[76:77], -v[80:81]
	v_add_f64 v[84:85], v[84:85], -v[86:87]
	;; [unrolled: 1-line block ×7, first 2 shown]
	s_waitcnt lgkmcnt(0)
	s_barrier
	buffer_gl0_inv
	v_mul_f64 v[109:110], v[94:95], s[48:49]
	v_add_f64 v[88:89], v[88:89], v[46:47]
	v_mul_f64 v[111:112], v[94:95], s[30:31]
	v_mul_f64 v[113:114], v[94:95], s[24:25]
	;; [unrolled: 1-line block ×7, first 2 shown]
	v_add_f64 v[46:47], v[46:47], v[26:27]
	v_fma_f64 v[123:124], v[92:93], s[46:47], v[109:110]
	v_add_f64 v[80:81], v[88:89], v[42:43]
	v_fma_f64 v[109:110], v[92:93], s[12:13], v[109:110]
	v_fma_f64 v[125:126], v[92:93], s[42:43], v[111:112]
	;; [unrolled: 1-line block ×15, first 2 shown]
	v_mul_f64 v[96:97], v[46:47], s[20:21]
	v_mul_f64 v[98:99], v[46:47], s[34:35]
	v_mul_f64 v[100:101], v[46:47], s[26:27]
	v_mul_f64 v[102:103], v[46:47], s[50:51]
	v_mul_f64 v[104:105], v[46:47], s[28:29]
	v_add_f64 v[94:95], v[24:25], v[123:124]
	v_add_f64 v[80:81], v[80:81], v[44:45]
	;; [unrolled: 1-line block ×17, first 2 shown]
	v_mul_f64 v[92:93], v[46:47], s[30:31]
	v_mul_f64 v[137:138], v[46:47], s[24:25]
	;; [unrolled: 1-line block ×3, first 2 shown]
	v_fma_f64 v[146:147], v[84:85], s[54:55], v[96:97]
	v_fma_f64 v[96:97], v[84:85], s[2:3], v[96:97]
	;; [unrolled: 1-line block ×3, first 2 shown]
	v_add_f64 v[80:81], v[80:81], v[60:61]
	v_fma_f64 v[98:99], v[84:85], s[18:19], v[98:99]
	v_fma_f64 v[150:151], v[84:85], s[36:37], v[100:101]
	;; [unrolled: 1-line block ×5, first 2 shown]
	v_add_f64 v[42:43], v[42:43], v[38:39]
	v_fma_f64 v[102:103], v[84:85], s[40:41], v[102:103]
	v_fma_f64 v[104:105], v[84:85], s[38:39], v[104:105]
	v_add_f64 v[44:45], v[44:45], v[40:41]
	v_add_f64 v[60:61], v[60:61], v[62:63]
	v_fma_f64 v[144:145], v[84:85], s[42:43], v[92:93]
	v_fma_f64 v[92:93], v[84:85], s[10:11], v[92:93]
	;; [unrolled: 1-line block ×6, first 2 shown]
	v_add_f64 v[80:81], v[80:81], v[64:65]
	v_add_f64 v[96:97], v[96:97], v[111:112]
	;; [unrolled: 1-line block ×7, first 2 shown]
	v_mul_f64 v[88:89], v[42:43], s[34:35]
	v_mul_f64 v[127:128], v[42:43], s[30:31]
	;; [unrolled: 1-line block ×4, first 2 shown]
	v_add_f64 v[102:103], v[102:103], v[117:118]
	v_add_f64 v[104:105], v[104:105], v[119:120]
	;; [unrolled: 1-line block ×7, first 2 shown]
	v_mul_f64 v[123:124], v[42:43], s[26:27]
	v_mul_f64 v[125:126], v[42:43], s[28:29]
	v_add_f64 v[80:81], v[80:81], v[72:73]
	v_add_f64 v[117:118], v[156:157], v[133:134]
	;; [unrolled: 1-line block ×6, first 2 shown]
	v_fma_f64 v[135:136], v[78:79], s[52:53], v[88:89]
	v_fma_f64 v[88:89], v[78:79], s[18:19], v[88:89]
	;; [unrolled: 1-line block ×10, first 2 shown]
	v_add_f64 v[80:81], v[80:81], v[34:35]
	v_add_f64 v[34:35], v[34:35], v[28:29]
	v_fma_f64 v[144:145], v[78:79], s[16:17], v[125:126]
	v_fma_f64 v[125:126], v[78:79], s[38:39], v[125:126]
	v_add_f64 v[104:105], v[129:130], v[104:105]
	v_add_f64 v[28:29], v[80:81], v[28:29]
	v_mul_f64 v[80:81], v[42:43], s[24:25]
	v_mul_f64 v[42:43], v[42:43], s[50:51]
	v_add_f64 v[28:29], v[28:29], v[74:75]
	v_fma_f64 v[133:134], v[78:79], s[44:45], v[80:81]
	v_fma_f64 v[80:81], v[78:79], s[6:7], v[80:81]
	;; [unrolled: 1-line block ×4, first 2 shown]
	v_mul_f64 v[74:75], v[44:45], s[20:21]
	v_add_f64 v[28:29], v[28:29], v[66:67]
	v_add_f64 v[46:47], v[133:134], v[84:85]
	;; [unrolled: 1-line block ×15, first 2 shown]
	v_mul_f64 v[115:116], v[44:45], s[26:27]
	v_mul_f64 v[117:118], v[44:45], s[28:29]
	;; [unrolled: 1-line block ×7, first 2 shown]
	v_fma_f64 v[127:128], v[82:83], s[54:55], v[74:75]
	v_fma_f64 v[74:75], v[82:83], s[2:3], v[74:75]
	v_add_f64 v[24:25], v[42:43], v[24:25]
	v_add_f64 v[28:29], v[28:29], v[62:63]
	v_mul_f64 v[62:63], v[60:61], s[28:29]
	v_mul_f64 v[66:67], v[60:61], s[50:51]
	v_fma_f64 v[129:130], v[82:83], s[36:37], v[115:116]
	v_fma_f64 v[115:116], v[82:83], s[4:5], v[115:116]
	;; [unrolled: 1-line block ×14, first 2 shown]
	v_add_f64 v[42:43], v[127:128], v[46:47]
	v_add_f64 v[46:47], v[74:75], v[78:79]
	;; [unrolled: 1-line block ×3, first 2 shown]
	v_mul_f64 v[40:41], v[64:65], s[34:35]
	v_add_f64 v[74:75], v[129:130], v[80:81]
	v_add_f64 v[78:79], v[115:116], v[84:85]
	;; [unrolled: 1-line block ×13, first 2 shown]
	v_mul_f64 v[109:110], v[60:61], s[30:31]
	v_mul_f64 v[111:112], v[60:61], s[24:25]
	;; [unrolled: 1-line block ×6, first 2 shown]
	v_fma_f64 v[119:120], v[86:87], s[38:39], v[62:63]
	v_fma_f64 v[62:63], v[86:87], s[16:17], v[62:63]
	v_fma_f64 v[121:122], v[86:87], s[22:23], v[66:67]
	v_fma_f64 v[66:67], v[86:87], s[40:41], v[66:67]
	v_add_f64 v[24:25], v[44:45], v[24:25]
	v_add_f64 v[28:29], v[28:29], v[38:39]
	v_mul_f64 v[38:39], v[72:73], s[50:51]
	v_fma_f64 v[123:124], v[86:87], s[10:11], v[109:110]
	v_fma_f64 v[109:110], v[86:87], s[42:43], v[109:110]
	;; [unrolled: 1-line block ×12, first 2 shown]
	v_add_f64 v[44:45], v[62:63], v[46:47]
	v_add_f64 v[46:47], v[121:122], v[74:75]
	;; [unrolled: 1-line block ×5, first 2 shown]
	v_mul_f64 v[28:29], v[34:35], s[34:35]
	v_add_f64 v[66:67], v[123:124], v[80:81]
	v_add_f64 v[74:75], v[109:110], v[82:83]
	;; [unrolled: 1-line block ×11, first 2 shown]
	v_mul_f64 v[98:99], v[64:65], s[28:29]
	v_mul_f64 v[100:101], v[64:65], s[48:49]
	;; [unrolled: 1-line block ×7, first 2 shown]
	v_fma_f64 v[113:114], v[90:91], s[52:53], v[40:41]
	v_fma_f64 v[40:41], v[90:91], s[18:19], v[40:41]
	v_add_f64 v[24:25], v[60:61], v[24:25]
	v_add_f64 v[26:27], v[26:27], v[36:37]
	v_fma_f64 v[115:116], v[90:91], s[16:17], v[98:99]
	v_fma_f64 v[98:99], v[90:91], s[38:39], v[98:99]
	v_fma_f64 v[117:118], v[90:91], s[46:47], v[100:101]
	v_fma_f64 v[100:101], v[90:91], s[12:13], v[100:101]
	v_fma_f64 v[119:120], v[90:91], s[40:41], v[102:103]
	v_fma_f64 v[102:103], v[90:91], s[22:23], v[102:103]
	v_fma_f64 v[121:122], v[90:91], s[2:3], v[104:105]
	v_fma_f64 v[104:105], v[90:91], s[54:55], v[104:105]
	v_fma_f64 v[123:124], v[90:91], s[42:43], v[109:110]
	v_fma_f64 v[109:110], v[90:91], s[10:11], v[109:110]
	v_fma_f64 v[125:126], v[90:91], s[36:37], v[111:112]
	v_fma_f64 v[111:112], v[90:91], s[4:5], v[111:112]
	v_fma_f64 v[127:128], v[90:91], s[6:7], v[64:65]
	v_fma_f64 v[64:65], v[90:91], s[44:45], v[64:65]
	v_add_f64 v[40:41], v[40:41], v[44:45]
	v_add_f64 v[42:43], v[113:114], v[42:43]
	;; [unrolled: 1-line block ×15, first 2 shown]
	v_mul_f64 v[92:93], v[72:73], s[24:25]
	v_mul_f64 v[94:95], v[72:73], s[20:21]
	;; [unrolled: 1-line block ×7, first 2 shown]
	v_fma_f64 v[104:105], v[76:77], s[40:41], v[38:39]
	v_fma_f64 v[38:39], v[76:77], s[22:23], v[38:39]
	v_add_f64 v[24:25], v[64:65], v[24:25]
	v_mul_f64 v[64:65], v[34:35], s[48:49]
	v_fma_f64 v[109:110], v[76:77], s[6:7], v[92:93]
	v_fma_f64 v[92:93], v[76:77], s[44:45], v[92:93]
	;; [unrolled: 1-line block ×14, first 2 shown]
	v_add_f64 v[32:33], v[104:105], v[42:43]
	v_add_f64 v[38:39], v[38:39], v[40:41]
	v_add_f64 v[40:41], v[109:110], v[44:45]
	v_add_f64 v[42:43], v[92:93], v[46:47]
	v_add_f64 v[44:45], v[111:112], v[60:61]
	v_add_f64 v[46:47], v[94:95], v[62:63]
	v_add_f64 v[60:61], v[113:114], v[66:67]
	v_add_f64 v[62:63], v[96:97], v[74:75]
	v_add_f64 v[66:67], v[115:116], v[78:79]
	v_add_f64 v[74:75], v[98:99], v[80:81]
	v_add_f64 v[76:77], v[117:118], v[82:83]
	v_add_f64 v[78:79], v[100:101], v[84:85]
	v_add_f64 v[80:81], v[119:120], v[86:87]
	v_mul_f64 v[82:83], v[34:35], s[50:51]
	v_add_f64 v[84:85], v[102:103], v[88:89]
	v_mul_f64 v[86:87], v[34:35], s[30:31]
	v_add_f64 v[88:89], v[121:122], v[90:91]
	;; [unrolled: 2-line block ×3, first 2 shown]
	v_mul_f64 v[72:73], v[34:35], s[28:29]
	v_mul_f64 v[92:93], v[34:35], s[20:21]
	;; [unrolled: 1-line block ×3, first 2 shown]
	v_fma_f64 v[94:95], v[30:31], s[12:13], v[64:65]
	v_fma_f64 v[64:65], v[30:31], s[46:47], v[64:65]
	;; [unrolled: 1-line block ×16, first 2 shown]
	v_add_f64 v[34:35], v[94:95], v[40:41]
	v_add_f64 v[36:37], v[96:97], v[44:45]
	;; [unrolled: 1-line block ×16, first 2 shown]
	ds_write2_b64 v106, v[26:27], v[32:33] offset1:17
	ds_write2_b64 v106, v[34:35], v[36:37] offset0:34 offset1:51
	ds_write2_b64 v106, v[40:41], v[42:43] offset0:68 offset1:85
	;; [unrolled: 1-line block ×7, first 2 shown]
	ds_write_b64 v106, v[66:67] offset:2176
	s_waitcnt lgkmcnt(0)
	s_barrier
	buffer_gl0_inv
	ds_read2_b64 v[24:27], v140 offset1:102
	ds_read2_b64 v[28:31], v141 offset0:33 offset1:135
	ds_read2_b64 v[32:35], v142 offset0:66 offset1:168
	;; [unrolled: 1-line block ×5, first 2 shown]
                                        ; implicit-def: $vgpr74_vgpr75
	s_and_saveexec_b32 s1, s0
	s_cbranch_execz .LBB0_17
; %bb.16:
	ds_read_b64 v[60:61], v140 offset:1632
	ds_read_b64 v[64:65], v140 offset:3944
	;; [unrolled: 1-line block ×6, first 2 shown]
.LBB0_17:
	s_or_b32 exec_lo, exec_lo, s1
	s_and_saveexec_b32 s1, vcc_lo
	s_cbranch_execz .LBB0_20
; %bb.18:
	v_add_nc_u32_e32 v76, 0x66, v192
	v_mul_u32_u24_e32 v77, 5, v192
	s_mov_b32 s4, 0xe8584caa
	s_mov_b32 s5, 0xbfebb67a
	;; [unrolled: 1-line block ×3, first 2 shown]
	v_mul_u32_u24_e32 v76, 5, v76
	v_lshlrev_b32_e32 v77, 4, v77
	s_mov_b32 s2, s4
	v_mul_lo_u32 v71, s56, v71
	v_mad_u64_u32 v[117:118], null, s56, v70, 0
	v_lshlrev_b32_e32 v76, 4, v76
	v_add_co_u32 v77, s1, s8, v77
	v_add_co_ci_u32_e64 v78, null, s9, 0, s1
	v_add_co_u32 v76, s1, s8, v76
	v_add_co_ci_u32_e64 v79, null, s9, 0, s1
	v_add_co_u32 v113, vcc_lo, 0x1100, v77
	v_add_co_ci_u32_e32 v114, vcc_lo, 0, v78, vcc_lo
	v_add_co_u32 v109, vcc_lo, 0x1100, v76
	v_add_co_ci_u32_e32 v110, vcc_lo, 0, v79, vcc_lo
	;; [unrolled: 2-line block ×4, first 2 shown]
	s_clause 0x9
	global_load_dwordx4 v[77:80], v[113:114], off offset:32
	global_load_dwordx4 v[81:84], v[93:94], off offset:320
	;; [unrolled: 1-line block ×10, first 2 shown]
	v_mul_lo_u32 v76, s57, v70
	v_mul_hi_u32 v121, 0xe2c4a689, v192
	v_add_nc_u32_e32 v122, 0x66, v192
	v_lshlrev_b64 v[119:120], 4, v[68:69]
	v_mov_b32_e32 v70, 0
	v_add_nc_u32_e32 v68, 0xcc, v192
	v_mul_hi_u32 v69, 0xe2c4a689, v122
	v_add3_u32 v118, v118, v71, v76
	v_lshrrev_b32_e32 v124, 8, v121
	v_mov_b32_e32 v121, v70
	v_mov_b32_e32 v123, v70
	;; [unrolled: 1-line block ×3, first 2 shown]
	v_lshlrev_b64 v[117:118], 4, v[117:118]
	v_mul_u32_u24_e32 v71, 0x121, v124
	v_lshrrev_b32_e32 v69, 8, v69
	v_mov_b32_e32 v127, v70
	v_cmp_gt_u32_e32 vcc_lo, 0x121, v68
	v_sub_nc_u32_e32 v71, v192, v71
	v_add_co_u32 v117, s1, s14, v117
	v_mul_u32_u24_e32 v76, 0x121, v69
	v_add_co_ci_u32_e64 v118, s1, s15, v118, s1
	v_lshlrev_b32_e32 v124, 4, v71
	v_add_co_u32 v71, s1, v117, v119
	v_sub_nc_u32_e32 v122, v122, v76
	v_add_co_ci_u32_e64 v76, s1, v118, v120, s1
	v_add_co_u32 v117, s1, v71, v124
	v_mad_u32_u24 v69, 0x6c6, v69, v122
	v_add_co_ci_u32_e64 v118, s1, 0, v76, s1
	v_add_co_u32 v138, s1, 0x1000, v117
	v_add_nc_u32_e32 v120, 0x121, v69
	v_add_co_ci_u32_e64 v139, s1, 0, v118, s1
	v_add_co_u32 v140, s1, 0x2000, v117
	v_add_co_ci_u32_e64 v141, s1, 0, v118, s1
	v_add_co_u32 v142, s1, 0x3000, v117
	v_add_co_ci_u32_e64 v143, s1, 0, v118, s1
	v_lshlrev_b64 v[128:129], 4, v[69:70]
	v_add_nc_u32_e32 v122, 0x242, v69
	v_add_nc_u32_e32 v124, 0x363, v69
	;; [unrolled: 1-line block ×4, first 2 shown]
	s_waitcnt vmcnt(9)
	v_mul_f64 v[130:131], v[12:13], v[79:80]
	s_waitcnt vmcnt(8)
	v_mul_f64 v[132:133], v[16:17], v[83:84]
	;; [unrolled: 2-line block ×4, first 2 shown]
	s_waitcnt lgkmcnt(2)
	v_mul_f64 v[79:80], v[40:41], v[79:80]
	s_waitcnt lgkmcnt(0)
	v_mul_f64 v[83:84], v[44:45], v[83:84]
	s_waitcnt vmcnt(5)
	v_mul_f64 v[144:145], v[20:21], v[95:96]
	v_mul_f64 v[87:88], v[42:43], v[87:88]
	v_mul_f64 v[91:92], v[46:47], v[91:92]
	s_waitcnt vmcnt(4)
	v_mul_f64 v[146:147], v[22:23], v[99:100]
	v_mul_f64 v[20:21], v[20:21], v[93:94]
	;; [unrolled: 4-line block ×3, first 2 shown]
	v_fma_f64 v[40:41], v[40:41], v[77:78], -v[130:131]
	v_fma_f64 v[44:45], v[44:45], v[81:82], -v[132:133]
	;; [unrolled: 1-line block ×4, first 2 shown]
	v_mul_f64 v[132:133], v[8:9], v[103:104]
	v_mul_f64 v[103:104], v[36:37], v[103:104]
	;; [unrolled: 1-line block ×4, first 2 shown]
	v_fma_f64 v[12:13], v[12:13], v[77:78], v[79:80]
	v_fma_f64 v[16:17], v[16:17], v[81:82], v[83:84]
	v_fma_f64 v[77:78], v[28:29], v[93:94], -v[144:145]
	v_mul_f64 v[107:108], v[34:35], v[107:108]
	v_mul_f64 v[111:112], v[38:39], v[111:112]
	v_fma_f64 v[14:15], v[14:15], v[85:86], v[87:88]
	v_fma_f64 v[18:19], v[18:19], v[89:90], v[91:92]
	v_fma_f64 v[79:80], v[30:31], v[97:98], -v[146:147]
	v_fma_f64 v[20:21], v[28:29], v[95:96], v[20:21]
	v_fma_f64 v[22:23], v[30:31], v[99:100], v[22:23]
	v_fma_f64 v[30:31], v[32:33], v[113:114], -v[148:149]
	v_fma_f64 v[4:5], v[4:5], v[113:114], v[115:116]
	v_add_co_u32 v130, s1, 0x4800, v117
	v_add_co_ci_u32_e64 v131, s1, 0, v118, s1
	v_add_f64 v[81:82], v[40:41], v[44:45]
	v_add_f64 v[83:84], v[42:43], v[46:47]
	v_fma_f64 v[36:37], v[36:37], v[101:102], -v[132:133]
	v_fma_f64 v[8:9], v[8:9], v[101:102], v[103:104]
	v_fma_f64 v[28:29], v[34:35], v[105:106], -v[134:135]
	v_fma_f64 v[34:35], v[38:39], v[109:110], -v[136:137]
	v_add_f64 v[103:104], v[40:41], -v[44:45]
	v_add_f64 v[32:33], v[12:13], v[16:17]
	v_add_f64 v[38:39], v[12:13], -v[16:17]
	v_fma_f64 v[6:7], v[6:7], v[105:106], v[107:108]
	v_fma_f64 v[10:11], v[10:11], v[109:110], v[111:112]
	v_add_f64 v[40:41], v[40:41], v[77:78]
	v_add_f64 v[95:96], v[14:15], v[18:19]
	v_add_f64 v[99:100], v[14:15], -v[18:19]
	v_add_f64 v[12:13], v[12:13], v[20:21]
	v_add_f64 v[14:15], v[14:15], v[22:23]
	v_add_co_u32 v85, s1, 0x5800, v117
	v_lshlrev_b64 v[87:88], 4, v[120:121]
	v_add_co_ci_u32_e64 v86, s1, 0, v118, s1
	v_lshlrev_b64 v[89:90], 4, v[122:123]
	v_fma_f64 v[81:82], v[81:82], -0.5, v[77:78]
	v_fma_f64 v[83:84], v[83:84], -0.5, v[79:80]
	v_add_f64 v[109:110], v[30:31], v[36:37]
	v_add_f64 v[111:112], v[4:5], v[8:9]
	v_add_co_u32 v101, s1, v71, v128
	v_add_f64 v[77:78], v[28:29], v[34:35]
	v_fma_f64 v[20:21], v[32:33], -0.5, v[20:21]
	v_add_f64 v[32:33], v[42:43], -v[46:47]
	v_add_f64 v[42:43], v[42:43], v[79:80]
	v_add_f64 v[107:108], v[6:7], v[10:11]
	v_add_f64 v[105:106], v[6:7], -v[10:11]
	v_fma_f64 v[79:80], v[95:96], -0.5, v[22:23]
	v_add_f64 v[6:7], v[2:3], v[6:7]
	v_add_f64 v[22:23], v[4:5], -v[8:9]
	v_add_f64 v[4:5], v[0:1], v[4:5]
	v_add_f64 v[40:41], v[44:45], v[40:41]
	;; [unrolled: 1-line block ×4, first 2 shown]
	v_add_co_ci_u32_e64 v102, s1, v76, v129, s1
	v_lshlrev_b64 v[91:92], 4, v[124:125]
	v_fma_f64 v[113:114], v[38:39], s[4:5], v[81:82]
	v_fma_f64 v[38:39], v[38:39], s[2:3], v[81:82]
	;; [unrolled: 1-line block ×4, first 2 shown]
	v_add_f64 v[99:100], v[24:25], v[30:31]
	v_add_f64 v[81:82], v[26:27], v[28:29]
	v_add_f64 v[30:31], v[30:31], -v[36:37]
	v_fma_f64 v[16:17], v[77:78], -0.5, v[26:27]
	v_fma_f64 v[24:25], v[109:110], -0.5, v[24:25]
	;; [unrolled: 1-line block ×3, first 2 shown]
	v_fma_f64 v[26:27], v[103:104], s[2:3], v[20:21]
	v_fma_f64 v[20:21], v[103:104], s[4:5], v[20:21]
	v_add_f64 v[28:29], v[28:29], -v[34:35]
	v_fma_f64 v[2:3], v[107:108], -0.5, v[2:3]
	v_fma_f64 v[107:108], v[32:33], s[2:3], v[79:80]
	v_fma_f64 v[32:33], v[32:33], s[4:5], v[79:80]
	v_add_f64 v[10:11], v[6:7], v[10:11]
	v_add_f64 v[42:43], v[46:47], v[42:43]
	v_add_co_u32 v87, s1, v71, v87
	v_add_co_ci_u32_e64 v88, s1, v76, v88, s1
	v_mul_f64 v[44:45], v[113:114], -0.5
	v_mul_f64 v[77:78], v[38:39], 0.5
	v_mul_f64 v[38:39], v[38:39], s[4:5]
	v_mul_f64 v[103:104], v[113:114], s[4:5]
	v_mul_f64 v[79:80], v[95:96], -0.5
	v_mul_f64 v[109:110], v[83:84], 0.5
	v_mul_f64 v[83:84], v[83:84], s[4:5]
	v_mul_f64 v[95:96], v[95:96], s[4:5]
	v_add_f64 v[18:19], v[99:100], v[36:37]
	v_add_f64 v[36:37], v[4:5], v[8:9]
	;; [unrolled: 1-line block ×3, first 2 shown]
	v_fma_f64 v[46:47], v[105:106], s[4:5], v[16:17]
	v_fma_f64 v[81:82], v[105:106], s[2:3], v[16:17]
	;; [unrolled: 1-line block ×7, first 2 shown]
	v_add_f64 v[0:1], v[10:11], -v[14:15]
	v_add_f64 v[4:5], v[10:11], v[14:15]
	v_lshlrev_b64 v[93:94], 4, v[126:127]
	v_add_co_u32 v89, s1, v71, v89
	v_fma_f64 v[30:31], v[26:27], s[2:3], v[44:45]
	v_fma_f64 v[44:45], v[20:21], s[2:3], v[77:78]
	v_fma_f64 v[38:39], v[20:21], 0.5, v[38:39]
	v_fma_f64 v[77:78], v[26:27], -0.5, v[103:104]
	v_fma_f64 v[79:80], v[107:108], s[2:3], v[79:80]
	v_fma_f64 v[109:110], v[32:33], s[2:3], v[109:110]
	v_fma_f64 v[83:84], v[32:33], 0.5, v[83:84]
	v_fma_f64 v[103:104], v[28:29], s[2:3], v[2:3]
	v_fma_f64 v[95:96], v[107:108], -0.5, v[95:96]
	v_add_f64 v[8:9], v[36:37], -v[12:13]
	v_add_f64 v[14:15], v[18:19], v[40:41]
	v_add_f64 v[12:13], v[36:37], v[12:13]
	v_add_f64 v[10:11], v[18:19], -v[40:41]
	v_add_f64 v[6:7], v[34:35], v[42:43]
	v_add_f64 v[2:3], v[34:35], -v[42:43]
	v_add_co_ci_u32_e64 v90, s1, v76, v90, s1
	v_lshlrev_b64 v[97:98], 4, v[69:70]
	v_add_f64 v[18:19], v[99:100], -v[30:31]
	v_add_f64 v[26:27], v[99:100], v[30:31]
	v_add_f64 v[30:31], v[24:25], v[44:45]
	;; [unrolled: 1-line block ×3, first 2 shown]
	v_add_f64 v[22:23], v[24:25], -v[44:45]
	v_add_f64 v[24:25], v[105:106], v[77:78]
	v_add_f64 v[20:21], v[111:112], -v[38:39]
	v_add_f64 v[16:17], v[105:106], -v[77:78]
	;; [unrolled: 1-line block ×3, first 2 shown]
	v_add_f64 v[42:43], v[46:47], v[79:80]
	v_add_f64 v[46:47], v[81:82], v[109:110]
	;; [unrolled: 1-line block ×4, first 2 shown]
	v_add_f64 v[38:39], v[81:82], -v[109:110]
	v_add_f64 v[36:37], v[113:114], -v[83:84]
	;; [unrolled: 1-line block ×3, first 2 shown]
	v_add_co_u32 v77, s1, v71, v91
	v_add_co_ci_u32_e64 v78, s1, v76, v92, s1
	v_add_co_u32 v79, s1, v71, v93
	v_add_co_ci_u32_e64 v80, s1, v76, v94, s1
	;; [unrolled: 2-line block ×3, first 2 shown]
	global_store_dwordx4 v[117:118], v[12:15], off
	global_store_dwordx4 v[142:143], v[8:11], off offset:1584
	global_store_dwordx4 v[138:139], v[28:31], off offset:528
	;; [unrolled: 1-line block ×5, first 2 shown]
	global_store_dwordx4 v[101:102], v[4:7], off
	global_store_dwordx4 v[77:78], v[0:3], off
	;; [unrolled: 1-line block ×6, first 2 shown]
	s_and_b32 exec_lo, exec_lo, vcc_lo
	s_cbranch_execz .LBB0_20
; %bb.19:
	v_mov_b32_e32 v0, 0xcc
	v_cndmask_b32_e64 v0, 0xffffffab, v0, s0
	v_add_nc_u32_e32 v0, v192, v0
	v_mul_i32_i24_e32 v69, 5, v0
	v_lshlrev_b64 v[0:1], 4, v[69:70]
	v_mov_b32_e32 v69, v70
	v_lshlrev_b64 v[36:37], 4, v[68:69]
	v_add_co_u32 v0, vcc_lo, s8, v0
	v_add_co_ci_u32_e32 v1, vcc_lo, s9, v1, vcc_lo
	v_add_nc_u32_e32 v69, 0x1ed, v192
	v_add_co_u32 v16, vcc_lo, 0x1100, v0
	v_add_co_ci_u32_e32 v17, vcc_lo, 0, v1, vcc_lo
	v_add_co_u32 v8, vcc_lo, 0x1000, v0
	v_add_co_ci_u32_e32 v9, vcc_lo, 0, v1, vcc_lo
	s_clause 0x4
	global_load_dwordx4 v[0:3], v[16:17], off offset:32
	global_load_dwordx4 v[4:7], v[8:9], off offset:320
	;; [unrolled: 1-line block ×5, first 2 shown]
	s_waitcnt vmcnt(4)
	v_mul_f64 v[20:21], v[56:57], v[2:3]
	s_waitcnt vmcnt(3)
	v_mul_f64 v[22:23], v[58:59], v[6:7]
	;; [unrolled: 2-line block ×3, first 2 shown]
	v_mul_f64 v[2:3], v[72:73], v[2:3]
	v_mul_f64 v[6:7], v[74:75], v[6:7]
	;; [unrolled: 1-line block ×3, first 2 shown]
	s_waitcnt vmcnt(1)
	v_mul_f64 v[26:27], v[62:63], v[14:15]
	v_mul_f64 v[14:15], v[52:53], v[14:15]
	s_waitcnt vmcnt(0)
	v_mul_f64 v[28:29], v[66:67], v[18:19]
	v_mul_f64 v[18:19], v[54:55], v[18:19]
	v_fma_f64 v[20:21], v[72:73], v[0:1], -v[20:21]
	v_fma_f64 v[22:23], v[74:75], v[4:5], -v[22:23]
	v_fma_f64 v[0:1], v[56:57], v[0:1], v[2:3]
	v_fma_f64 v[2:3], v[58:59], v[4:5], v[6:7]
	v_fma_f64 v[4:5], v[64:65], v[8:9], -v[24:25]
	v_fma_f64 v[24:25], v[52:53], v[12:13], v[26:27]
	v_fma_f64 v[12:13], v[62:63], v[12:13], -v[14:15]
	;; [unrolled: 2-line block ×3, first 2 shown]
	v_fma_f64 v[8:9], v[50:51], v[8:9], v[10:11]
	v_add_f64 v[6:7], v[20:21], v[22:23]
	v_add_f64 v[30:31], v[20:21], -v[22:23]
	v_add_f64 v[10:11], v[0:1], v[2:3]
	v_add_f64 v[18:19], v[0:1], -v[2:3]
	v_add_f64 v[26:27], v[24:25], v[14:15]
	v_add_f64 v[28:29], v[12:13], v[16:17]
	v_add_f64 v[34:35], v[12:13], -v[16:17]
	v_add_f64 v[12:13], v[60:61], v[12:13]
	v_add_f64 v[0:1], v[8:9], v[0:1]
	v_fma_f64 v[6:7], v[6:7], -0.5, v[4:5]
	v_add_f64 v[4:5], v[4:5], v[20:21]
	v_fma_f64 v[10:11], v[10:11], -0.5, v[8:9]
	v_fma_f64 v[8:9], v[26:27], -0.5, v[48:49]
	;; [unrolled: 1-line block ×3, first 2 shown]
	v_add_f64 v[12:13], v[12:13], v[16:17]
	v_add_f64 v[16:17], v[0:1], v[2:3]
	v_lshlrev_b64 v[0:1], 4, v[69:70]
	v_add_nc_u32_e32 v69, 0x30e, v192
	v_fma_f64 v[32:33], v[18:19], s[2:3], v[6:7]
	v_fma_f64 v[6:7], v[18:19], s[4:5], v[6:7]
	v_add_f64 v[18:19], v[48:49], v[24:25]
	v_add_f64 v[24:25], v[24:25], -v[14:15]
	v_fma_f64 v[26:27], v[30:31], s[4:5], v[10:11]
	v_fma_f64 v[10:11], v[30:31], s[2:3], v[10:11]
	v_mul_f64 v[28:29], v[32:33], s[4:5]
	v_mul_f64 v[32:33], v[32:33], 0.5
	v_mul_f64 v[30:31], v[6:7], s[4:5]
	v_mul_f64 v[6:7], v[6:7], -0.5
	v_add_f64 v[14:15], v[18:19], v[14:15]
	v_add_f64 v[18:19], v[4:5], v[22:23]
	v_fma_f64 v[22:23], v[34:35], s[4:5], v[8:9]
	v_fma_f64 v[38:39], v[24:25], s[2:3], v[20:21]
	;; [unrolled: 1-line block ×4, first 2 shown]
	v_fma_f64 v[20:21], v[26:27], 0.5, v[28:29]
	v_fma_f64 v[26:27], v[26:27], s[2:3], v[32:33]
	v_fma_f64 v[28:29], v[10:11], -0.5, v[30:31]
	v_fma_f64 v[30:31], v[10:11], s[2:3], v[6:7]
	v_add_co_u32 v32, vcc_lo, v71, v36
	v_add_co_ci_u32_e32 v33, vcc_lo, v76, v37, vcc_lo
	v_add_co_u32 v40, vcc_lo, v71, v0
	v_lshlrev_b64 v[36:37], 4, v[69:70]
	v_add_nc_u32_e32 v69, 0x42f, v192
	v_add_co_ci_u32_e32 v41, vcc_lo, v76, v1, vcc_lo
	v_add_f64 v[0:1], v[14:15], v[16:17]
	v_add_f64 v[2:3], v[12:13], v[18:19]
	v_add_f64 v[4:5], v[14:15], -v[16:17]
	v_add_f64 v[6:7], v[12:13], -v[18:19]
	v_lshlrev_b64 v[42:43], 4, v[69:70]
	v_add_nc_u32_e32 v69, 0x550, v192
	v_add_f64 v[8:9], v[22:23], v[20:21]
	v_add_f64 v[10:11], v[38:39], v[26:27]
	v_add_f64 v[12:13], v[34:35], v[28:29]
	v_add_f64 v[14:15], v[24:25], v[30:31]
	v_add_f64 v[16:17], v[22:23], -v[20:21]
	v_add_f64 v[18:19], v[38:39], -v[26:27]
	;; [unrolled: 1-line block ×4, first 2 shown]
	v_lshlrev_b64 v[26:27], 4, v[69:70]
	v_add_nc_u32_e32 v69, 0x671, v192
	v_add_co_u32 v24, vcc_lo, v71, v36
	v_add_co_ci_u32_e32 v25, vcc_lo, v76, v37, vcc_lo
	v_add_co_u32 v28, vcc_lo, v71, v42
	v_lshlrev_b64 v[30:31], 4, v[69:70]
	v_add_co_ci_u32_e32 v29, vcc_lo, v76, v43, vcc_lo
	v_add_co_u32 v26, vcc_lo, v71, v26
	v_add_co_ci_u32_e32 v27, vcc_lo, v76, v27, vcc_lo
	v_add_co_u32 v30, vcc_lo, v71, v30
	v_add_co_ci_u32_e32 v31, vcc_lo, v76, v31, vcc_lo
	global_store_dwordx4 v[32:33], v[0:3], off
	global_store_dwordx4 v[28:29], v[4:7], off
	;; [unrolled: 1-line block ×6, first 2 shown]
.LBB0_20:
	s_endpgm
	.section	.rodata,"a",@progbits
	.p2align	6, 0x0
	.amdhsa_kernel fft_rtc_back_len1734_factors_17_17_6_wgs_102_tpt_102_halfLds_dp_op_CI_CI_unitstride_sbrr_dirReg
		.amdhsa_group_segment_fixed_size 0
		.amdhsa_private_segment_fixed_size 0
		.amdhsa_kernarg_size 104
		.amdhsa_user_sgpr_count 6
		.amdhsa_user_sgpr_private_segment_buffer 1
		.amdhsa_user_sgpr_dispatch_ptr 0
		.amdhsa_user_sgpr_queue_ptr 0
		.amdhsa_user_sgpr_kernarg_segment_ptr 1
		.amdhsa_user_sgpr_dispatch_id 0
		.amdhsa_user_sgpr_flat_scratch_init 0
		.amdhsa_user_sgpr_private_segment_size 0
		.amdhsa_wavefront_size32 1
		.amdhsa_uses_dynamic_stack 0
		.amdhsa_system_sgpr_private_segment_wavefront_offset 0
		.amdhsa_system_sgpr_workgroup_id_x 1
		.amdhsa_system_sgpr_workgroup_id_y 0
		.amdhsa_system_sgpr_workgroup_id_z 0
		.amdhsa_system_sgpr_workgroup_info 0
		.amdhsa_system_vgpr_workitem_id 0
		.amdhsa_next_free_vgpr 225
		.amdhsa_next_free_sgpr 58
		.amdhsa_reserve_vcc 1
		.amdhsa_reserve_flat_scratch 0
		.amdhsa_float_round_mode_32 0
		.amdhsa_float_round_mode_16_64 0
		.amdhsa_float_denorm_mode_32 3
		.amdhsa_float_denorm_mode_16_64 3
		.amdhsa_dx10_clamp 1
		.amdhsa_ieee_mode 1
		.amdhsa_fp16_overflow 0
		.amdhsa_workgroup_processor_mode 1
		.amdhsa_memory_ordered 1
		.amdhsa_forward_progress 0
		.amdhsa_shared_vgpr_count 0
		.amdhsa_exception_fp_ieee_invalid_op 0
		.amdhsa_exception_fp_denorm_src 0
		.amdhsa_exception_fp_ieee_div_zero 0
		.amdhsa_exception_fp_ieee_overflow 0
		.amdhsa_exception_fp_ieee_underflow 0
		.amdhsa_exception_fp_ieee_inexact 0
		.amdhsa_exception_int_div_zero 0
	.end_amdhsa_kernel
	.text
.Lfunc_end0:
	.size	fft_rtc_back_len1734_factors_17_17_6_wgs_102_tpt_102_halfLds_dp_op_CI_CI_unitstride_sbrr_dirReg, .Lfunc_end0-fft_rtc_back_len1734_factors_17_17_6_wgs_102_tpt_102_halfLds_dp_op_CI_CI_unitstride_sbrr_dirReg
                                        ; -- End function
	.section	.AMDGPU.csdata,"",@progbits
; Kernel info:
; codeLenInByte = 17864
; NumSgprs: 60
; NumVgprs: 225
; ScratchSize: 0
; MemoryBound: 1
; FloatMode: 240
; IeeeMode: 1
; LDSByteSize: 0 bytes/workgroup (compile time only)
; SGPRBlocks: 7
; VGPRBlocks: 28
; NumSGPRsForWavesPerEU: 60
; NumVGPRsForWavesPerEU: 225
; Occupancy: 4
; WaveLimiterHint : 1
; COMPUTE_PGM_RSRC2:SCRATCH_EN: 0
; COMPUTE_PGM_RSRC2:USER_SGPR: 6
; COMPUTE_PGM_RSRC2:TRAP_HANDLER: 0
; COMPUTE_PGM_RSRC2:TGID_X_EN: 1
; COMPUTE_PGM_RSRC2:TGID_Y_EN: 0
; COMPUTE_PGM_RSRC2:TGID_Z_EN: 0
; COMPUTE_PGM_RSRC2:TIDIG_COMP_CNT: 0
	.text
	.p2alignl 6, 3214868480
	.fill 48, 4, 3214868480
	.type	__hip_cuid_77d71336546b5d9a,@object ; @__hip_cuid_77d71336546b5d9a
	.section	.bss,"aw",@nobits
	.globl	__hip_cuid_77d71336546b5d9a
__hip_cuid_77d71336546b5d9a:
	.byte	0                               ; 0x0
	.size	__hip_cuid_77d71336546b5d9a, 1

	.ident	"AMD clang version 19.0.0git (https://github.com/RadeonOpenCompute/llvm-project roc-6.4.0 25133 c7fe45cf4b819c5991fe208aaa96edf142730f1d)"
	.section	".note.GNU-stack","",@progbits
	.addrsig
	.addrsig_sym __hip_cuid_77d71336546b5d9a
	.amdgpu_metadata
---
amdhsa.kernels:
  - .args:
      - .actual_access:  read_only
        .address_space:  global
        .offset:         0
        .size:           8
        .value_kind:     global_buffer
      - .offset:         8
        .size:           8
        .value_kind:     by_value
      - .actual_access:  read_only
        .address_space:  global
        .offset:         16
        .size:           8
        .value_kind:     global_buffer
      - .actual_access:  read_only
        .address_space:  global
        .offset:         24
        .size:           8
        .value_kind:     global_buffer
      - .actual_access:  read_only
        .address_space:  global
        .offset:         32
        .size:           8
        .value_kind:     global_buffer
      - .offset:         40
        .size:           8
        .value_kind:     by_value
      - .actual_access:  read_only
        .address_space:  global
        .offset:         48
        .size:           8
        .value_kind:     global_buffer
      - .actual_access:  read_only
        .address_space:  global
        .offset:         56
        .size:           8
        .value_kind:     global_buffer
      - .offset:         64
        .size:           4
        .value_kind:     by_value
      - .actual_access:  read_only
        .address_space:  global
        .offset:         72
        .size:           8
        .value_kind:     global_buffer
      - .actual_access:  read_only
        .address_space:  global
        .offset:         80
        .size:           8
        .value_kind:     global_buffer
      - .actual_access:  read_only
        .address_space:  global
        .offset:         88
        .size:           8
        .value_kind:     global_buffer
      - .actual_access:  write_only
        .address_space:  global
        .offset:         96
        .size:           8
        .value_kind:     global_buffer
    .group_segment_fixed_size: 0
    .kernarg_segment_align: 8
    .kernarg_segment_size: 104
    .language:       OpenCL C
    .language_version:
      - 2
      - 0
    .max_flat_workgroup_size: 102
    .name:           fft_rtc_back_len1734_factors_17_17_6_wgs_102_tpt_102_halfLds_dp_op_CI_CI_unitstride_sbrr_dirReg
    .private_segment_fixed_size: 0
    .sgpr_count:     60
    .sgpr_spill_count: 0
    .symbol:         fft_rtc_back_len1734_factors_17_17_6_wgs_102_tpt_102_halfLds_dp_op_CI_CI_unitstride_sbrr_dirReg.kd
    .uniform_work_group_size: 1
    .uses_dynamic_stack: false
    .vgpr_count:     225
    .vgpr_spill_count: 0
    .wavefront_size: 32
    .workgroup_processor_mode: 1
amdhsa.target:   amdgcn-amd-amdhsa--gfx1030
amdhsa.version:
  - 1
  - 2
...

	.end_amdgpu_metadata
